;; amdgpu-corpus repo=ROCm/rocFFT kind=compiled arch=gfx950 opt=O3
	.text
	.amdgcn_target "amdgcn-amd-amdhsa--gfx950"
	.amdhsa_code_object_version 6
	.protected	fft_rtc_back_len80_factors_4_4_5_wgs_190_tpt_5_halfLds_dim2_sp_ip_CI_sbcc_twdbase8_3step_dirReg_intrinsicReadWrite ; -- Begin function fft_rtc_back_len80_factors_4_4_5_wgs_190_tpt_5_halfLds_dim2_sp_ip_CI_sbcc_twdbase8_3step_dirReg_intrinsicReadWrite
	.globl	fft_rtc_back_len80_factors_4_4_5_wgs_190_tpt_5_halfLds_dim2_sp_ip_CI_sbcc_twdbase8_3step_dirReg_intrinsicReadWrite
	.p2align	8
	.type	fft_rtc_back_len80_factors_4_4_5_wgs_190_tpt_5_halfLds_dim2_sp_ip_CI_sbcc_twdbase8_3step_dirReg_intrinsicReadWrite,@function
fft_rtc_back_len80_factors_4_4_5_wgs_190_tpt_5_halfLds_dim2_sp_ip_CI_sbcc_twdbase8_3step_dirReg_intrinsicReadWrite: ; @fft_rtc_back_len80_factors_4_4_5_wgs_190_tpt_5_halfLds_dim2_sp_ip_CI_sbcc_twdbase8_3step_dirReg_intrinsicReadWrite
; %bb.0:
	s_load_dwordx4 s[4:7], s[0:1], 0x10
	s_mov_b32 s3, 0
	s_waitcnt lgkmcnt(0)
	s_load_dwordx2 s[12:13], s[4:5], 0x8
	s_load_dwordx2 s[8:9], s[0:1], 0x50
	;; [unrolled: 1-line block ×3, first 2 shown]
	s_waitcnt lgkmcnt(0)
	s_add_u32 s4, s12, -1
	s_addc_u32 s5, s13, -1
	s_add_u32 s11, 0, 0x286b7a80
	s_addc_u32 s14, 0, 23
	s_mul_hi_u32 s16, s11, 0xffffffda
	s_add_i32 s14, s14, 0x6bca198
	s_sub_i32 s16, s16, s11
	s_mul_i32 s19, s14, 0xffffffda
	s_mul_i32 s15, s11, 0xffffffda
	s_add_i32 s16, s16, s19
	s_mul_hi_u32 s17, s14, s15
	s_mul_i32 s18, s14, s15
	s_mul_i32 s20, s11, s16
	s_mul_hi_u32 s15, s11, s15
	s_mul_hi_u32 s19, s11, s16
	s_add_u32 s15, s15, s20
	s_addc_u32 s19, 0, s19
	s_add_u32 s15, s15, s18
	s_mul_hi_u32 s20, s14, s16
	s_addc_u32 s15, s19, s17
	s_addc_u32 s17, s20, 0
	s_mul_i32 s16, s14, s16
	s_add_u32 s15, s15, s16
	v_mov_b32_e32 v1, s15
	s_addc_u32 s16, 0, s17
	v_add_co_u32_e32 v1, vcc, s11, v1
	s_cmp_lg_u64 vcc, 0
	s_addc_u32 s11, s14, s16
	v_readfirstlane_b32 s16, v1
	s_mul_i32 s15, s4, s11
	s_mul_hi_u32 s17, s4, s16
	s_mul_hi_u32 s14, s4, s11
	s_add_u32 s15, s17, s15
	s_addc_u32 s14, 0, s14
	s_mul_hi_u32 s18, s5, s16
	s_mul_i32 s16, s5, s16
	s_add_u32 s15, s15, s16
	s_mul_hi_u32 s17, s5, s11
	s_addc_u32 s14, s14, s18
	s_addc_u32 s15, s17, 0
	s_mul_i32 s11, s5, s11
	s_add_u32 s11, s14, s11
	s_addc_u32 s14, 0, s15
	s_add_u32 s15, s11, 1
	s_addc_u32 s16, s14, 0
	s_add_u32 s17, s11, 2
	s_mul_i32 s19, s14, 38
	s_mul_hi_u32 s20, s11, 38
	s_addc_u32 s18, s14, 0
	s_add_i32 s20, s20, s19
	s_mul_i32 s19, s11, 38
	v_mov_b32_e32 v1, s19
	v_sub_co_u32_e32 v1, vcc, s4, v1
	s_cmp_lg_u64 vcc, 0
	s_subb_u32 s4, s5, s20
	v_subrev_co_u32_e32 v2, vcc, 38, v1
	s_cmp_lg_u64 vcc, 0
	s_subb_u32 s5, s4, 0
	v_readfirstlane_b32 s19, v2
	s_cmp_gt_u32 s19, 37
	s_cselect_b32 s19, -1, 0
	s_cmp_eq_u32 s5, 0
	s_cselect_b32 s5, s19, -1
	s_cmp_lg_u32 s5, 0
	s_cselect_b32 s5, s17, s15
	s_cselect_b32 s15, s18, s16
	v_readfirstlane_b32 s16, v1
	s_cmp_gt_u32 s16, 37
	s_cselect_b32 s16, -1, 0
	s_cmp_eq_u32 s4, 0
	s_cselect_b32 s4, s16, -1
	s_cmp_lg_u32 s4, 0
	s_cselect_b32 s4, s5, s11
	s_cselect_b32 s14, s15, s14
	s_add_u32 s4, s4, 1
	s_addc_u32 s5, s14, 0
	v_mov_b64_e32 v[2:3], s[4:5]
	v_cmp_lt_u64_e32 vcc, s[2:3], v[2:3]
	s_mov_b64 s[14:15], 0
	s_cbranch_vccnz .LBB0_2
; %bb.1:
	v_cvt_f32_u32_e32 v1, s4
	s_sub_i32 s3, 0, s4
	v_rcp_iflag_f32_e32 v1, v1
	s_nop 0
	v_mul_f32_e32 v1, 0x4f7ffffe, v1
	v_cvt_u32_f32_e32 v1, v1
	s_nop 0
	v_readfirstlane_b32 s11, v1
	s_mul_i32 s3, s3, s11
	s_mul_hi_u32 s3, s11, s3
	s_add_i32 s11, s11, s3
	s_mul_hi_u32 s3, s2, s11
	s_mul_i32 s14, s3, s4
	s_sub_i32 s14, s2, s14
	s_add_i32 s11, s3, 1
	s_sub_i32 s15, s14, s4
	s_cmp_ge_u32 s14, s4
	s_cselect_b32 s3, s11, s3
	s_cselect_b32 s14, s15, s14
	s_add_i32 s11, s3, 1
	s_cmp_ge_u32 s14, s4
	s_cselect_b32 s14, s11, s3
.LBB0_2:
	s_mul_i32 s3, s14, s5
	s_mul_hi_u32 s5, s14, s4
	s_add_i32 s5, s5, s3
	s_mul_i32 s3, s14, s4
	s_sub_u32 s2, s2, s3
	s_subb_u32 s3, 0, s5
	s_load_dwordx4 s[4:7], s[6:7], 0x8
	v_mul_u32_u24_e32 v1, 0x6bd, v0
	v_lshrrev_b32_e32 v124, 16, v1
	s_waitcnt lgkmcnt(0)
	s_mul_i32 s5, s3, 38
	s_mul_hi_u32 s3, s2, 38
	s_mul_i32 s15, s2, 38
	v_mul_lo_u16_e32 v1, 38, v124
	s_add_i32 s7, s3, s5
	s_mul_i32 s3, s15, s4
	s_mul_i32 s6, s6, s14
	v_sub_u16_e32 v22, v0, v1
	v_mov_b32_e32 v23, 0
	s_add_u32 s11, s6, s3
	v_mad_u64_u32 v[20:21], s[2:3], s2, 38, v[22:23]
	s_add_u32 s2, s15, 38
	s_addc_u32 s3, s7, 0
	v_mov_b64_e32 v[2:3], s[12:13]
	v_add_u32_e32 v21, s5, v21
	v_cmp_le_u64_e32 vcc, s[2:3], v[2:3]
	v_mad_u64_u32 v[18:19], s[2:3], s4, v22, 0
	v_cmp_gt_u64_e64 s[2:3], s[12:13], v[20:21]
	s_or_b64 s[12:13], vcc, s[2:3]
	v_mov_b32_e32 v2, 0
	v_mov_b32_e32 v3, 0
	s_and_saveexec_b64 s[4:5], s[12:13]
	s_cbranch_execz .LBB0_4
; %bb.3:
	v_mul_lo_u32 v1, s10, v124
	v_add3_u32 v2, s11, v18, v1
	v_mov_b32_e32 v3, v23
	v_lshl_add_u64 v[2:3], v[2:3], 3, s[8:9]
	global_load_dwordx2 v[2:3], v[2:3], off
.LBB0_4:
	s_or_b64 exec, exec, s[4:5]
	v_mov_b32_e32 v5, 0
	s_and_saveexec_b64 s[4:5], s[12:13]
	s_cbranch_execz .LBB0_6
; %bb.5:
	v_add_u32_e32 v1, 20, v124
	v_mul_lo_u32 v1, s10, v1
	v_add3_u32 v4, s11, v18, v1
	v_mov_b32_e32 v5, 0
	v_lshl_add_u64 v[4:5], v[4:5], 3, s[8:9]
	global_load_dwordx2 v[4:5], v[4:5], off
	s_waitcnt vmcnt(0)
	v_mov_b32_e32 v23, v4
.LBB0_6:
	s_or_b64 exec, exec, s[4:5]
	v_mov_b32_e32 v6, 0
	v_mov_b32_e32 v8, 0
	v_mov_b32_e32 v9, 0
	s_and_saveexec_b64 s[4:5], s[12:13]
	s_cbranch_execz .LBB0_8
; %bb.7:
	v_or_b32_e32 v1, 40, v124
	v_mul_lo_u32 v1, s10, v1
	v_add3_u32 v8, s11, v18, v1
	v_mov_b32_e32 v9, 0
	v_lshl_add_u64 v[8:9], v[8:9], 3, s[8:9]
	global_load_dwordx2 v[8:9], v[8:9], off
.LBB0_8:
	s_or_b64 exec, exec, s[4:5]
	v_mov_b32_e32 v7, 0
	s_and_saveexec_b64 s[4:5], s[12:13]
	s_cbranch_execz .LBB0_10
; %bb.9:
	v_add_u32_e32 v1, 60, v124
	v_mul_lo_u32 v1, s10, v1
	v_add3_u32 v6, s11, v18, v1
	v_mov_b32_e32 v7, 0
	v_lshl_add_u64 v[6:7], v[6:7], 3, s[8:9]
	global_load_dwordx2 v[6:7], v[6:7], off
.LBB0_10:
	s_or_b64 exec, exec, s[4:5]
	v_add_u32_e32 v19, 5, v124
	v_mov_b32_e32 v10, 0
	v_mov_b32_e32 v12, 0
	;; [unrolled: 1-line block ×3, first 2 shown]
	s_and_saveexec_b64 s[4:5], s[12:13]
	s_cbranch_execz .LBB0_12
; %bb.11:
	v_mul_lo_u32 v1, s10, v19
	v_add3_u32 v12, s11, v18, v1
	v_mov_b32_e32 v13, 0
	v_lshl_add_u64 v[12:13], v[12:13], 3, s[8:9]
	global_load_dwordx2 v[12:13], v[12:13], off
.LBB0_12:
	s_or_b64 exec, exec, s[4:5]
	v_mov_b32_e32 v11, 0
	s_and_saveexec_b64 s[4:5], s[12:13]
	s_cbranch_execz .LBB0_14
; %bb.13:
	v_add_u32_e32 v1, 25, v124
	v_mul_lo_u32 v1, s10, v1
	v_add3_u32 v10, s11, v18, v1
	v_mov_b32_e32 v11, 0
	v_lshl_add_u64 v[10:11], v[10:11], 3, s[8:9]
	global_load_dwordx2 v[10:11], v[10:11], off
.LBB0_14:
	s_or_b64 exec, exec, s[4:5]
	v_mov_b32_e32 v14, 0
	v_mov_b32_e32 v16, 0
	v_mov_b32_e32 v17, 0
	s_and_saveexec_b64 s[4:5], s[12:13]
	s_cbranch_execz .LBB0_16
; %bb.15:
	v_add_u32_e32 v1, 45, v124
	v_mul_lo_u32 v1, s10, v1
	v_add3_u32 v16, s11, v18, v1
	v_mov_b32_e32 v17, 0
	v_lshl_add_u64 v[16:17], v[16:17], 3, s[8:9]
	global_load_dwordx2 v[16:17], v[16:17], off
.LBB0_16:
	s_or_b64 exec, exec, s[4:5]
	v_mov_b32_e32 v15, 0
	s_and_saveexec_b64 s[4:5], s[12:13]
	s_cbranch_execz .LBB0_18
; %bb.17:
	v_add_u32_e32 v1, 0x41, v124
	v_mul_lo_u32 v1, s10, v1
	v_add3_u32 v14, s11, v18, v1
	v_mov_b32_e32 v15, 0
	v_lshl_add_u64 v[14:15], v[14:15], 3, s[8:9]
	global_load_dwordx2 v[14:15], v[14:15], off
.LBB0_18:
	s_or_b64 exec, exec, s[4:5]
	v_add_u32_e32 v126, 10, v124
	v_mov_b32_e32 v24, 0
	v_mov_b32_e32 v26, 0
	;; [unrolled: 1-line block ×3, first 2 shown]
	s_and_saveexec_b64 s[4:5], s[12:13]
	s_cbranch_execz .LBB0_20
; %bb.19:
	v_mul_lo_u32 v1, s10, v126
	v_add3_u32 v26, s11, v18, v1
	v_mov_b32_e32 v27, 0
	v_lshl_add_u64 v[26:27], v[26:27], 3, s[8:9]
	global_load_dwordx2 v[26:27], v[26:27], off
.LBB0_20:
	s_or_b64 exec, exec, s[4:5]
	v_mov_b32_e32 v25, 0
	s_and_saveexec_b64 s[4:5], s[12:13]
	s_cbranch_execz .LBB0_22
; %bb.21:
	v_add_u32_e32 v1, 30, v124
	v_mul_lo_u32 v1, s10, v1
	v_add3_u32 v24, s11, v18, v1
	v_mov_b32_e32 v25, 0
	v_lshl_add_u64 v[24:25], v[24:25], 3, s[8:9]
	global_load_dwordx2 v[24:25], v[24:25], off
.LBB0_22:
	s_or_b64 exec, exec, s[4:5]
	v_mov_b32_e32 v28, 0
	v_mov_b32_e32 v30, 0
	;; [unrolled: 1-line block ×3, first 2 shown]
	s_and_saveexec_b64 s[4:5], s[12:13]
	s_cbranch_execz .LBB0_24
; %bb.23:
	v_add_u32_e32 v1, 50, v124
	v_mul_lo_u32 v1, s10, v1
	v_add3_u32 v30, s11, v18, v1
	v_mov_b32_e32 v31, 0
	v_lshl_add_u64 v[30:31], v[30:31], 3, s[8:9]
	global_load_dwordx2 v[30:31], v[30:31], off
.LBB0_24:
	s_or_b64 exec, exec, s[4:5]
	v_mov_b32_e32 v29, 0
	s_and_saveexec_b64 s[4:5], s[12:13]
	s_cbranch_execz .LBB0_26
; %bb.25:
	v_add_u32_e32 v1, 0x46, v124
	v_mul_lo_u32 v1, s10, v1
	v_add3_u32 v28, s11, v18, v1
	v_mov_b32_e32 v29, 0
	v_lshl_add_u64 v[28:29], v[28:29], 3, s[8:9]
	global_load_dwordx2 v[28:29], v[28:29], off
.LBB0_26:
	s_or_b64 exec, exec, s[4:5]
	v_add_u32_e32 v1, 15, v124
	v_mov_b32_e32 v32, 0
	v_mov_b32_e32 v34, 0
	;; [unrolled: 1-line block ×3, first 2 shown]
	s_and_saveexec_b64 s[4:5], s[12:13]
	s_cbranch_execz .LBB0_28
; %bb.27:
	v_mul_lo_u32 v4, s10, v1
	v_add3_u32 v34, s11, v18, v4
	v_mov_b32_e32 v35, 0
	v_lshl_add_u64 v[34:35], v[34:35], 3, s[8:9]
	global_load_dwordx2 v[34:35], v[34:35], off
.LBB0_28:
	s_or_b64 exec, exec, s[4:5]
	v_mov_b32_e32 v33, 0
	s_and_saveexec_b64 s[4:5], s[12:13]
	s_cbranch_execz .LBB0_30
; %bb.29:
	v_add_u32_e32 v4, 35, v124
	v_mul_lo_u32 v4, s10, v4
	v_add3_u32 v32, s11, v18, v4
	v_mov_b32_e32 v33, 0
	v_lshl_add_u64 v[32:33], v[32:33], 3, s[8:9]
	global_load_dwordx2 v[32:33], v[32:33], off
.LBB0_30:
	s_or_b64 exec, exec, s[4:5]
	s_load_dwordx2 s[6:7], s[0:1], 0x0
	v_mov_b32_e32 v36, 0
	v_mov_b32_e32 v38, 0
	;; [unrolled: 1-line block ×3, first 2 shown]
	s_and_saveexec_b64 s[4:5], s[12:13]
	s_cbranch_execz .LBB0_32
; %bb.31:
	v_add_u32_e32 v4, 55, v124
	v_mul_lo_u32 v4, s10, v4
	v_add3_u32 v38, s11, v18, v4
	v_mov_b32_e32 v39, 0
	v_lshl_add_u64 v[38:39], v[38:39], 3, s[8:9]
	global_load_dwordx2 v[38:39], v[38:39], off
.LBB0_32:
	s_or_b64 exec, exec, s[4:5]
	v_mov_b32_e32 v37, 0
	s_and_saveexec_b64 s[4:5], s[12:13]
	s_cbranch_execz .LBB0_34
; %bb.33:
	v_add_u32_e32 v4, 0x4b, v124
	v_mul_lo_u32 v4, s10, v4
	v_add3_u32 v36, s11, v18, v4
	v_mov_b32_e32 v37, 0
	v_lshl_add_u64 v[36:37], v[36:37], 3, s[8:9]
	global_load_dwordx2 v[36:37], v[36:37], off
.LBB0_34:
	s_or_b64 exec, exec, s[4:5]
	v_mov_b32_e32 v4, v23
	s_waitcnt vmcnt(0)
	v_pk_add_f32 v[8:9], v[2:3], v[8:9] neg_lo:[0,1] neg_hi:[0,1]
	v_lshlrev_b32_e32 v55, 2, v22
	v_fma_f32 v21, v2, 2.0, -v8
	v_fma_f32 v40, v3, 2.0, -v9
	v_pk_add_f32 v[2:3], v[4:5], v[6:7] neg_lo:[0,1] neg_hi:[0,1]
	s_movk_i32 s4, 0xfe38
	v_fma_f32 v5, v5, 2.0, -v3
	v_fma_f32 v4, v23, 2.0, -v2
	v_sub_f32_e32 v7, v40, v5
	v_sub_f32_e32 v6, v21, v4
	v_fma_f32 v23, v40, 2.0, -v7
	v_add_f32_e32 v40, v8, v3
	v_sub_f32_e32 v41, v9, v2
	v_pk_add_f32 v[2:3], v[12:13], v[16:17] neg_lo:[0,1] neg_hi:[0,1]
	v_pk_add_f32 v[4:5], v[10:11], v[14:15] neg_lo:[0,1] neg_hi:[0,1]
	v_fma_f32 v12, v12, 2.0, -v2
	v_add_f32_e32 v14, v2, v5
	v_sub_f32_e32 v15, v3, v4
	v_fma_f32 v13, v13, 2.0, -v3
	v_fma_f32 v10, v10, 2.0, -v4
	;; [unrolled: 1-line block ×5, first 2 shown]
	v_pk_add_f32 v[2:3], v[26:27], v[30:31] neg_lo:[0,1] neg_hi:[0,1]
	v_pk_add_f32 v[4:5], v[24:25], v[28:29] neg_lo:[0,1] neg_hi:[0,1]
	v_fma_f32 v26, v26, 2.0, -v2
	v_fma_f32 v24, v24, 2.0, -v4
	;; [unrolled: 1-line block ×4, first 2 shown]
	v_sub_f32_e32 v24, v26, v24
	v_sub_f32_e32 v42, v27, v25
	v_fma_f32 v25, v26, 2.0, -v24
	v_add_f32_e32 v26, v2, v5
	v_sub_f32_e32 v44, v3, v4
	v_fma_f32 v43, v27, 2.0, -v42
	v_fma_f32 v27, v2, 2.0, -v26
	;; [unrolled: 1-line block ×3, first 2 shown]
	v_pk_add_f32 v[2:3], v[34:35], v[38:39] neg_lo:[0,1] neg_hi:[0,1]
	v_pk_add_f32 v[4:5], v[32:33], v[36:37] neg_lo:[0,1] neg_hi:[0,1]
	v_fma_f32 v29, v35, 2.0, -v3
	v_fma_f32 v31, v33, 2.0, -v5
	v_sub_f32_e32 v36, v29, v31
	v_fma_f32 v37, v29, 2.0, -v36
	v_mul_u32_u24_e32 v29, 0x260, v124
	v_fma_f32 v21, v21, 2.0, -v6
	v_fma_f32 v8, v8, 2.0, -v40
	v_add3_u32 v46, 0, v29, v55
	ds_write2_b32 v46, v21, v8 offset1:38
	ds_write2_b32 v46, v6, v40 offset0:76 offset1:114
	v_mul_u32_u24_e32 v6, 0x98, v19
	v_sub_f32_e32 v10, v12, v10
	v_fma_f32 v28, v34, 2.0, -v2
	v_fma_f32 v30, v32, 2.0, -v4
	v_lshlrev_b32_e32 v6, 2, v6
	v_fma_f32 v12, v12, 2.0, -v10
	v_sub_f32_e32 v30, v28, v30
	v_add_f32_e32 v5, v2, v5
	v_add3_u32 v6, 0, v6, v55
	v_fma_f32 v28, v28, 2.0, -v30
	v_fma_f32 v2, v2, 2.0, -v5
	ds_write2_b32 v6, v12, v16 offset1:38
	ds_write2_b32 v6, v10, v14 offset0:76 offset1:114
	v_add_u32_e32 v12, 0x1600, v6
	ds_write2_b32 v12, v28, v2 offset0:112 offset1:150
	v_add_u32_e32 v2, 0x1800, v6
	ds_write2_b32 v2, v30, v5 offset0:60 offset1:98
	v_mad_i32_i24 v21, v124, s4, v46
	v_mad_i32_i24 v39, v19, s4, v6
	v_mul_i32_i24_e32 v5, 0xfffffe38, v126
	s_movk_i32 s4, 0xbe0
	v_fma_f32 v9, v9, 2.0, -v41
	v_sub_f32_e32 v11, v13, v11
	v_sub_f32_e32 v4, v3, v4
	v_add_u32_e32 v8, 0xa00, v6
	v_add_u32_e32 v10, 0xc00, v6
	v_add_u32_e32 v50, 0xb00, v21
	v_add_u32_e32 v51, 0x1700, v21
	v_add_u32_e32 v48, 0x2300, v21
	v_add3_u32 v40, v6, s4, v5
	v_add_u32_e32 v52, 0x1100, v21
	v_add_u32_e32 v53, 0x1d00, v21
	;; [unrolled: 1-line block ×3, first 2 shown]
	v_mul_i32_i24_e32 v5, 0xfffffe38, v1
	s_movk_i32 s4, 0x17c0
	v_fma_f32 v13, v13, 2.0, -v11
	v_fma_f32 v3, v3, 2.0, -v4
	ds_write2_b32 v8, v25, v27 offset0:120 offset1:158
	ds_write2_b32 v10, v24, v26 offset0:68 offset1:106
	s_waitcnt lgkmcnt(0)
	s_barrier
	ds_read2_b32 v[24:25], v50 offset0:56 offset1:246
	ds_read2_b32 v[30:31], v51 offset0:48 offset1:238
	;; [unrolled: 1-line block ×6, first 2 shown]
	v_add3_u32 v38, v6, s4, v5
	ds_read_b32 v56, v21
	ds_read_b32 v57, v39
	;; [unrolled: 1-line block ×4, first 2 shown]
	s_waitcnt lgkmcnt(0)
	s_barrier
	ds_write2_b32 v46, v23, v9 offset1:38
	ds_write2_b32 v46, v7, v41 offset0:76 offset1:114
	ds_write2_b32 v6, v13, v17 offset1:38
	ds_write2_b32 v6, v11, v15 offset0:76 offset1:114
	ds_write2_b32 v8, v43, v45 offset0:120 offset1:158
	;; [unrolled: 1-line block ×5, first 2 shown]
	v_and_b32_e32 v2, 3, v124
	v_mul_u32_u24_e32 v2, 3, v2
	v_lshlrev_b32_e32 v23, 3, v2
	s_waitcnt lgkmcnt(0)
	s_barrier
	global_load_dwordx2 v[36:37], v23, s[6:7] offset:16
	v_and_b32_e32 v2, 3, v19
	v_mul_u32_u24_e32 v2, 3, v2
	v_and_b32_e32 v60, 3, v126
	v_lshlrev_b32_e32 v41, 3, v2
	global_load_dwordx2 v[42:43], v41, s[6:7] offset:16
	v_mul_u32_u24_e32 v2, 3, v60
	v_lshlrev_b32_e32 v49, 3, v2
	global_load_dwordx2 v[44:45], v49, s[6:7] offset:16
	v_and_b32_e32 v61, 3, v1
	v_mul_u32_u24_e32 v2, 3, v61
	v_lshlrev_b32_e32 v62, 3, v2
	global_load_dwordx2 v[46:47], v62, s[6:7] offset:16
	global_load_dwordx4 v[2:5], v23, s[6:7]
	global_load_dwordx4 v[6:9], v41, s[6:7]
	;; [unrolled: 1-line block ×4, first 2 shown]
	ds_read2_b32 v[48:49], v48 offset0:40 offset1:230
	s_movk_i32 s4, 0x70
	v_add_u32_e32 v66, 0x900, v21
	v_add_u32_e32 v65, 0xf40, v21
	;; [unrolled: 1-line block ×3, first 2 shown]
	s_waitcnt vmcnt(7) lgkmcnt(0)
	v_mul_f32_e32 v23, v48, v37
	v_fmac_f32_e32 v23, v26, v36
	v_mul_f32_e32 v26, v26, v37
	v_fma_f32 v41, v48, v36, -v26
	ds_read2_b32 v[36:37], v54 offset0:36 offset1:226
	s_waitcnt vmcnt(6)
	v_mul_f32_e32 v26, v27, v43
	v_mul_f32_e32 v48, v49, v43
	v_fma_f32 v49, v49, v42, -v26
	s_waitcnt vmcnt(5)
	v_mul_f32_e32 v26, v34, v45
	v_fmac_f32_e32 v48, v27, v42
	s_waitcnt lgkmcnt(0)
	v_mul_f32_e32 v54, v36, v45
	v_fma_f32 v36, v36, v44, -v26
	ds_read2_b32 v[26:27], v50 offset0:56 offset1:246
	s_waitcnt vmcnt(4)
	v_mul_f32_e32 v42, v35, v47
	v_mul_f32_e32 v62, v37, v47
	v_fma_f32 v63, v37, v46, -v42
	ds_read2_b32 v[42:43], v52 offset0:52 offset1:242
	v_fmac_f32_e32 v54, v34, v44
	v_fmac_f32_e32 v62, v35, v46
	ds_read2_b32 v[34:35], v51 offset0:48 offset1:238
	s_waitcnt vmcnt(3) lgkmcnt(2)
	v_mul_f32_e32 v44, v26, v3
	v_mul_f32_e32 v3, v24, v3
	v_fmac_f32_e32 v44, v24, v2
	v_fma_f32 v37, v26, v2, -v3
	s_waitcnt vmcnt(2)
	v_mul_f32_e32 v24, v27, v7
	v_mul_f32_e32 v2, v25, v7
	v_fmac_f32_e32 v24, v25, v6
	v_fma_f32 v7, v27, v6, -v2
	s_waitcnt vmcnt(1) lgkmcnt(1)
	v_mul_f32_e32 v25, v42, v11
	v_mul_f32_e32 v6, v28, v11
	v_fmac_f32_e32 v25, v28, v10
	v_fma_f32 v11, v42, v10, -v6
	s_waitcnt lgkmcnt(0)
	v_mul_f32_e32 v10, v34, v5
	v_fmac_f32_e32 v10, v30, v4
	s_waitcnt vmcnt(0)
	v_mul_f32_e32 v26, v43, v15
	v_mul_f32_e32 v15, v29, v15
	v_sub_f32_e32 v10, v56, v10
	v_sub_f32_e32 v42, v44, v23
	v_lshlrev_b32_e32 v27, 2, v124
	v_fmac_f32_e32 v26, v29, v14
	v_fma_f32 v6, v43, v14, -v15
	v_fma_f32 v14, v56, 2.0, -v10
	v_sub_f32_e32 v43, v37, v41
	v_fma_f32 v15, v44, 2.0, -v42
	v_bitop3_b32 v29, v27, 19, v124 bitop3:0xc8
	v_sub_f32_e32 v23, v14, v15
	v_add_f32_e32 v28, v10, v43
	v_mul_u32_u24_e32 v29, 0x98, v29
	v_fma_f32 v14, v14, 2.0, -v23
	v_fma_f32 v10, v10, 2.0, -v28
	v_add3_u32 v46, 0, v29, v55
	ds_read2_b32 v[2:3], v53 offset0:44 offset1:234
	ds_read_b32 v45, v21
	ds_read_b32 v44, v39
	;; [unrolled: 1-line block ×4, first 2 shown]
	s_waitcnt lgkmcnt(0)
	s_barrier
	ds_write2_b32 v46, v14, v10 offset1:152
	v_mul_f32_e32 v10, v35, v9
	v_add_u32_e32 v47, 0x400, v46
	v_fmac_f32_e32 v10, v31, v8
	v_lshlrev_b32_e32 v29, 2, v19
	ds_write2_b32 v47, v23, v28 offset0:48 offset1:200
	v_sub_f32_e32 v10, v57, v10
	v_sub_f32_e32 v50, v24, v48
	v_bitop3_b32 v28, v29, 51, v19 bitop3:0xc8
	v_fma_f32 v14, v57, 2.0, -v10
	v_sub_f32_e32 v51, v7, v49
	v_fma_f32 v23, v24, 2.0, -v50
	v_mul_u32_u24_e32 v28, 0x98, v28
	v_sub_f32_e32 v23, v14, v23
	v_add_f32_e32 v24, v10, v51
	v_add3_u32 v48, 0, v28, v55
	v_fma_f32 v14, v14, 2.0, -v23
	v_fma_f32 v10, v10, 2.0, -v24
	v_add_u32_e32 v49, 0x400, v48
	v_sub_f32_e32 v54, v25, v54
	ds_write2_b32 v48, v14, v10 offset1:152
	ds_write2_b32 v49, v23, v24 offset0:48 offset1:200
	v_mul_f32_e32 v10, v2, v13
	v_fma_f32 v23, v25, 2.0, -v54
	v_lshlrev_b32_e32 v25, 2, v126
	v_fmac_f32_e32 v10, v32, v12
	v_and_or_b32 v28, v25, s4, v60
	v_sub_f32_e32 v10, v58, v10
	v_mul_u32_u24_e32 v28, 0x98, v28
	v_fma_f32 v14, v58, 2.0, -v10
	v_sub_f32_e32 v56, v11, v36
	v_add3_u32 v52, 0, v28, v55
	v_sub_f32_e32 v23, v14, v23
	v_add_f32_e32 v24, v10, v56
	v_add_u32_e32 v53, 0x400, v52
	v_fma_f32 v14, v14, 2.0, -v23
	v_fma_f32 v10, v10, 2.0, -v24
	ds_write2_b32 v53, v23, v24 offset0:48 offset1:200
	v_lshlrev_b32_e32 v23, 2, v1
	ds_write2_b32 v52, v14, v10 offset1:152
	v_and_or_b32 v10, v23, s4, v61
	v_mul_u32_u24_e32 v10, 0x98, v10
	v_add3_u32 v55, 0, v10, v55
	v_mul_f32_e32 v10, v3, v17
	v_fmac_f32_e32 v10, v33, v16
	v_sub_f32_e32 v10, v59, v10
	v_sub_f32_e32 v58, v26, v62
	v_fma_f32 v14, v59, 2.0, -v10
	v_fma_f32 v24, v26, 2.0, -v58
	v_sub_f32_e32 v59, v6, v63
	v_sub_f32_e32 v24, v14, v24
	v_fma_f32 v26, v14, 2.0, -v24
	v_add_f32_e32 v14, v10, v59
	v_fma_f32 v10, v10, 2.0, -v14
	v_add_u32_e32 v57, 0x400, v55
	ds_write2_b32 v55, v26, v10 offset1:152
	ds_write2_b32 v57, v24, v14 offset0:48 offset1:200
	s_waitcnt lgkmcnt(0)
	s_barrier
	v_add_u32_e32 v63, 0x2240, v21
	v_add_u32_e32 v62, 0x1500, v21
	;; [unrolled: 1-line block ×3, first 2 shown]
	ds_read2_b32 v[74:75], v66 offset0:32 offset1:222
	ds_read2_b32 v[70:71], v65 offset0:12 offset1:240
	;; [unrolled: 1-line block ×6, first 2 shown]
	ds_read_b32 v36, v21
	ds_read_b32 v10, v39
	;; [unrolled: 1-line block ×3, first 2 shown]
	v_lshl_add_u32 v60, v22, 2, 0
	v_cmp_gt_u32_e64 s[4:5], 38, v0
                                        ; implicit-def: $vgpr22
                                        ; implicit-def: $vgpr24
                                        ; implicit-def: $vgpr26
                                        ; implicit-def: $vgpr28
	s_and_saveexec_b64 s[14:15], s[4:5]
	s_cbranch_execz .LBB0_36
; %bb.35:
	ds_read_b32 v14, v38
	ds_read_b32 v28, v60 offset:4712
	ds_read_b32 v26, v60 offset:7144
	;; [unrolled: 1-line block ×4, first 2 shown]
.LBB0_36:
	s_or_b64 exec, exec, s[14:15]
	v_mul_f32_e32 v5, v30, v5
	v_fma_f32 v4, v34, v4, -v5
	v_mul_f32_e32 v5, v31, v9
	v_fma_f32 v5, v35, v8, -v5
	;; [unrolled: 2-line block ×4, first 2 shown]
	v_sub_f32_e32 v4, v45, v4
	v_sub_f32_e32 v5, v44, v5
	;; [unrolled: 1-line block ×3, first 2 shown]
	v_fma_f32 v8, v45, 2.0, -v4
	v_fma_f32 v9, v37, 2.0, -v43
	;; [unrolled: 1-line block ×4, first 2 shown]
	v_sub_f32_e32 v2, v41, v2
	v_fma_f32 v15, v15, 2.0, -v3
	v_fma_f32 v6, v6, 2.0, -v59
	v_sub_f32_e32 v9, v8, v9
	v_sub_f32_e32 v12, v4, v42
	;; [unrolled: 1-line block ×3, first 2 shown]
	v_fma_f32 v17, v41, 2.0, -v2
	v_fma_f32 v11, v11, 2.0, -v56
	v_sub_f32_e32 v6, v15, v6
	v_fma_f32 v8, v8, 2.0, -v9
	v_fma_f32 v4, v4, 2.0, -v12
	;; [unrolled: 1-line block ×3, first 2 shown]
	v_sub_f32_e32 v16, v5, v50
	v_sub_f32_e32 v11, v17, v11
	;; [unrolled: 1-line block ×3, first 2 shown]
	v_fma_f32 v31, v15, 2.0, -v6
	v_sub_f32_e32 v15, v3, v58
	v_fma_f32 v5, v5, 2.0, -v16
	v_fma_f32 v17, v17, 2.0, -v11
	;; [unrolled: 1-line block ×4, first 2 shown]
	s_waitcnt lgkmcnt(0)
	s_barrier
	ds_write2_b32 v46, v8, v4 offset1:152
	ds_write2_b32 v47, v9, v12 offset0:48 offset1:200
	ds_write2_b32 v48, v13, v5 offset1:152
	ds_write2_b32 v49, v7, v16 offset0:48 offset1:200
	;; [unrolled: 2-line block ×4, first 2 shown]
	s_waitcnt lgkmcnt(0)
	s_barrier
	ds_read2_b32 v[82:83], v66 offset0:32 offset1:222
	ds_read2_b32 v[78:79], v65 offset0:12 offset1:240
	ds_read2_b32 v[76:77], v64 offset0:32 offset1:222
	ds_read2_b32 v[80:81], v63 offset0:12 offset1:240
	ds_read2_b32 v[104:105], v62 offset0:62 offset1:252
	ds_read2_b32 v[12:13], v61 offset0:62 offset1:252
	ds_read_b32 v37, v21
	ds_read_b32 v11, v39
	;; [unrolled: 1-line block ×3, first 2 shown]
                                        ; implicit-def: $vgpr16
                                        ; implicit-def: $vgpr30
                                        ; implicit-def: $vgpr32
                                        ; implicit-def: $vgpr34
	s_and_saveexec_b64 s[14:15], s[4:5]
	s_cbranch_execz .LBB0_38
; %bb.37:
	ds_read_b32 v15, v38
	ds_read_b32 v34, v60 offset:4712
	ds_read_b32 v32, v60 offset:7144
	;; [unrolled: 1-line block ×4, first 2 shown]
.LBB0_38:
	s_or_b64 exec, exec, s[14:15]
	s_load_dwordx2 s[18:19], s[0:1], 0x8
	v_and_b32_e32 v2, 60, v23
	v_lshlrev_b32_e32 v31, 3, v2
	v_and_b32_e32 v2, 15, v1
	v_mul_lo_u32 v3, v20, v2
	v_mov_b32_e32 v17, 3
	v_or_b32_e32 v6, 16, v2
	v_lshlrev_b32_sdwa v4, v17, v3 dst_sel:DWORD dst_unused:UNUSED_PAD src0_sel:DWORD src1_sel:BYTE_0
	v_lshlrev_b32_sdwa v5, v17, v3 dst_sel:DWORD dst_unused:UNUSED_PAD src0_sel:DWORD src1_sel:BYTE_1
	v_bfe_u32 v3, v3, 16, 8
	v_mov_b32_e32 v21, 0x1000
	v_mul_lo_u32 v6, v20, v6
	v_lshl_or_b32 v3, v3, 3, v21
	v_lshlrev_b32_sdwa v7, v17, v6 dst_sel:DWORD dst_unused:UNUSED_PAD src0_sel:DWORD src1_sel:BYTE_0
	s_waitcnt lgkmcnt(0)
	global_load_dwordx2 v[44:45], v4, s[18:19]
	global_load_dwordx2 v[48:49], v5, s[18:19] offset:2048
	global_load_dwordx2 v[40:41], v3, s[18:19]
	global_load_dwordx2 v[38:39], v7, s[18:19]
	v_bfe_u32 v4, v6, 16, 8
	v_or_b32_e32 v5, 32, v2
	v_lshlrev_b32_sdwa v3, v17, v6 dst_sel:DWORD dst_unused:UNUSED_PAD src0_sel:DWORD src1_sel:BYTE_1
	v_lshl_or_b32 v4, v4, 3, v21
	v_mul_lo_u32 v5, v20, v5
	v_lshlrev_b32_sdwa v6, v17, v5 dst_sel:DWORD dst_unused:UNUSED_PAD src0_sel:DWORD src1_sel:BYTE_0
	v_lshlrev_b32_sdwa v7, v17, v5 dst_sel:DWORD dst_unused:UNUSED_PAD src0_sel:DWORD src1_sel:BYTE_1
	global_load_dwordx2 v[54:55], v3, s[18:19] offset:2048
	global_load_dwordx2 v[50:51], v4, s[18:19]
	global_load_dwordx2 v[42:43], v6, s[18:19]
	global_load_dwordx2 v[46:47], v7, s[18:19] offset:2048
	v_or_b32_e32 v4, 48, v2
	v_mul_lo_u32 v4, v20, v4
	v_or_b32_e32 v2, 64, v2
	v_bfe_u32 v3, v5, 16, 8
	v_lshlrev_b32_sdwa v5, v17, v4 dst_sel:DWORD dst_unused:UNUSED_PAD src0_sel:DWORD src1_sel:BYTE_0
	v_lshlrev_b32_sdwa v6, v17, v4 dst_sel:DWORD dst_unused:UNUSED_PAD src0_sel:DWORD src1_sel:BYTE_1
	v_bfe_u32 v4, v4, 16, 8
	v_mul_lo_u32 v2, v20, v2
	v_lshl_or_b32 v3, v3, 3, v21
	v_lshl_or_b32 v4, v4, 3, v21
	v_lshlrev_b32_sdwa v33, v17, v2 dst_sel:DWORD dst_unused:UNUSED_PAD src0_sel:DWORD src1_sel:BYTE_0
	v_lshlrev_b32_sdwa v35, v17, v2 dst_sel:DWORD dst_unused:UNUSED_PAD src0_sel:DWORD src1_sel:BYTE_1
	v_bfe_u32 v2, v2, 16, 8
	global_load_dwordx2 v[60:61], v3, s[18:19]
	global_load_dwordx2 v[56:57], v5, s[18:19]
	global_load_dwordx2 v[58:59], v6, s[18:19] offset:2048
	global_load_dwordx2 v[52:53], v4, s[18:19]
	v_lshl_or_b32 v84, v2, 3, v21
	global_load_dwordx2 v[64:65], v33, s[18:19]
	global_load_dwordx2 v[66:67], v35, s[18:19] offset:2048
	global_load_dwordx2 v[62:63], v84, s[18:19]
	global_load_dwordx4 v[2:5], v31, s[6:7] offset:112
	global_load_dwordx4 v[6:9], v31, s[6:7] offset:96
	s_and_saveexec_b64 s[4:5], s[12:13]
	s_cbranch_execz .LBB0_40
; %bb.39:
	v_and_b32_e32 v31, 60, v25
	v_lshlrev_b32_e32 v31, 3, v31
	global_load_dwordx4 v[84:87], v31, s[6:7] offset:112
	global_load_dwordx4 v[88:91], v31, s[6:7] offset:96
	s_mov_b32 s14, 0x3f737871
	s_mov_b32 s16, 0x3f167918
	s_mov_b32 s12, 0x3e9e377a
	s_movk_i32 s0, 0x25f
	v_cmp_lt_u32_e64 s[0:1], s0, v0
	s_waitcnt vmcnt(0)
	v_pk_mul_f32 v[92:93], v[78:79], v[88:89] op_sel_hi:[0,1]
	v_pk_fma_f32 v[98:99], v[70:71], v[88:89], v[92:93] op_sel:[0,0,1] op_sel_hi:[1,1,0]
	v_pk_fma_f32 v[88:89], v[70:71], v[88:89], v[92:93] op_sel:[0,0,1] op_sel_hi:[0,1,0] neg_lo:[1,0,0] neg_hi:[1,0,0]
	v_mov_b32_e32 v70, v105
	v_mov_b32_e32 v99, v89
	v_pk_mul_f32 v[88:89], v[70:71], v[90:91] op_sel_hi:[0,1]
	v_mov_b32_e32 v70, v103
	v_pk_fma_f32 v[106:107], v[70:71], v[90:91], v[88:89] op_sel:[0,0,1] op_sel_hi:[1,1,0]
	v_pk_fma_f32 v[88:89], v[70:71], v[90:91], v[88:89] op_sel:[0,0,1] op_sel_hi:[0,1,0] neg_lo:[1,0,0] neg_hi:[1,0,0]
	v_mov_b32_e32 v70, v13
	v_pk_mul_f32 v[90:91], v[70:71], v[86:87] op_sel_hi:[0,1]
	v_mov_b32_e32 v70, v101
	v_pk_fma_f32 v[108:109], v[70:71], v[86:87], v[90:91] op_sel:[0,0,1] op_sel_hi:[1,1,0]
	v_pk_fma_f32 v[86:87], v[70:71], v[86:87], v[90:91] op_sel:[0,0,1] op_sel_hi:[0,1,0] neg_lo:[1,0,0] neg_hi:[1,0,0]
	v_mov_b32_e32 v109, v87
	v_pk_mul_f32 v[86:87], v[80:81], v[84:85] op_sel_hi:[0,1]
	v_pk_fma_f32 v[110:111], v[72:73], v[84:85], v[86:87] op_sel:[0,0,1] op_sel_hi:[1,1,0]
	v_pk_fma_f32 v[84:85], v[72:73], v[84:85], v[86:87] op_sel:[0,0,1] op_sel_hi:[0,1,0] neg_lo:[1,0,0] neg_hi:[1,0,0]
	v_mov_b32_e32 v107, v89
	v_mov_b32_e32 v111, v85
	v_pk_add_f32 v[88:89], v[98:99], v[106:107] neg_lo:[0,1] neg_hi:[0,1]
	v_pk_add_f32 v[84:85], v[108:109], v[110:111] neg_lo:[0,1] neg_hi:[0,1]
	v_pk_add_f32 v[86:87], v[106:107], v[110:111]
	v_and_b32_e32 v13, 15, v126
	v_pk_add_f32 v[84:85], v[88:89], v[84:85]
	v_pk_fma_f32 v[86:87], v[86:87], 0.5, v[96:97] op_sel_hi:[1,0,1] neg_lo:[1,0,0] neg_hi:[1,0,0]
	v_pk_add_f32 v[88:89], v[98:99], v[108:109] neg_lo:[0,1] neg_hi:[0,1]
	v_or_b32_e32 v31, 64, v13
	v_pk_fma_f32 v[116:117], v[88:89], s[14:15], v[86:87] op_sel:[1,0,0] op_sel_hi:[0,0,1]
	v_pk_fma_f32 v[112:113], v[88:89], s[14:15], v[86:87] op_sel:[1,0,0] op_sel_hi:[0,0,1] neg_lo:[1,0,0] neg_hi:[1,0,0]
	v_pk_add_f32 v[90:91], v[106:107], v[110:111] neg_lo:[0,1] neg_hi:[0,1]
	v_mul_lo_u32 v31, v20, v31
	v_pk_fma_f32 v[86:87], v[90:91], s[16:17], v[116:117] op_sel:[1,0,0] op_sel_hi:[0,0,1]
	v_pk_fma_f32 v[92:93], v[90:91], s[16:17], v[112:113] op_sel:[1,0,0] op_sel_hi:[0,0,1] neg_lo:[1,0,0] neg_hi:[1,0,0]
	v_bfe_u32 v33, v31, 16, 8
	v_mov_b32_e32 v87, v93
	v_lshl_or_b32 v33, v33, 3, v21
	v_pk_mul_f32 v[94:95], v[84:85], s[12:13] op_sel_hi:[1,0]
	v_pk_fma_f32 v[86:87], v[84:85], s[12:13], v[86:87] op_sel_hi:[1,0,1]
	global_load_dwordx2 v[84:85], v33, s[18:19]
	v_lshlrev_b32_sdwa v33, v17, v31 dst_sel:DWORD dst_unused:UNUSED_PAD src0_sel:DWORD src1_sel:BYTE_0
	v_lshlrev_b32_sdwa v31, v17, v31 dst_sel:DWORD dst_unused:UNUSED_PAD src0_sel:DWORD src1_sel:BYTE_1
	global_load_dwordx2 v[92:93], v33, s[18:19]
	global_load_dwordx2 v[118:119], v31, s[18:19] offset:2048
	v_pk_add_f32 v[120:121], v[98:99], v[108:109]
	v_pk_mul_f32 v[114:115], v[90:91], s[16:17] op_sel:[1,0] op_sel_hi:[0,0]
	v_pk_fma_f32 v[120:121], v[120:121], 0.5, v[96:97] op_sel_hi:[1,0,1] neg_lo:[1,0,0] neg_hi:[1,0,0]
	v_pk_mul_f32 v[128:129], v[88:89], s[16:17] op_sel:[1,0] op_sel_hi:[0,0]
	v_pk_fma_f32 v[122:123], v[90:91], s[14:15], v[120:121] op_sel:[1,0,0] op_sel_hi:[0,0,1] neg_lo:[1,0,0] neg_hi:[1,0,0]
	v_pk_fma_f32 v[120:121], v[90:91], s[14:15], v[120:121] op_sel:[1,0,0] op_sel_hi:[0,0,1]
	v_pk_fma_f32 v[90:91], v[88:89], s[16:17], v[122:123] op_sel:[1,0,0] op_sel_hi:[0,0,1]
	v_pk_fma_f32 v[88:89], v[88:89], s[16:17], v[120:121] op_sel:[1,0,0] op_sel_hi:[0,0,1] neg_lo:[1,0,0] neg_hi:[1,0,0]
	v_mov_b32_e32 v91, v89
	v_pk_add_f32 v[96:97], v[96:97], v[98:99]
	s_waitcnt vmcnt(0)
	v_mul_f32_e32 v31, v92, v118
	v_fma_f32 v31, -v93, v119, v31
	v_pk_mul_f32 v[92:93], v[92:93], v[118:119] op_sel:[1,0] op_sel_hi:[0,1]
	v_add_f32_e32 v33, v92, v93
	v_mul_f32_e32 v35, v33, v85
	v_fma_f32 v70, v84, v31, -v35
	v_mul_f32_e32 v72, v31, v85
	v_or_b32_e32 v31, 48, v13
	v_fmac_f32_e32 v72, v84, v33
	v_mul_lo_u32 v31, v20, v31
	v_pk_mul_f32 v[92:93], v[86:87], v[72:73] op_sel_hi:[1,0]
	v_bfe_u32 v33, v31, 16, 8
	v_pk_fma_f32 v[84:85], v[86:87], v[70:71], v[92:93] op_sel:[0,0,1] op_sel_hi:[1,1,0]
	v_pk_fma_f32 v[86:87], v[86:87], v[70:71], v[92:93] op_sel:[0,0,1] op_sel_hi:[1,0,0] neg_lo:[0,0,1] neg_hi:[0,0,1]
	v_pk_add_f32 v[92:93], v[106:107], v[98:99] neg_lo:[0,1] neg_hi:[0,1]
	v_pk_add_f32 v[118:119], v[110:111], v[108:109] neg_lo:[0,1] neg_hi:[0,1]
	v_lshl_or_b32 v33, v33, 3, v21
	v_pk_add_f32 v[92:93], v[92:93], v[118:119]
	global_load_dwordx2 v[88:89], v33, s[18:19]
	v_lshlrev_b32_sdwa v33, v17, v31 dst_sel:DWORD dst_unused:UNUSED_PAD src0_sel:DWORD src1_sel:BYTE_0
	v_lshlrev_b32_sdwa v31, v17, v31 dst_sel:DWORD dst_unused:UNUSED_PAD src0_sel:DWORD src1_sel:BYTE_1
	v_pk_mul_f32 v[118:119], v[92:93], s[12:13] op_sel_hi:[1,0]
	v_pk_fma_f32 v[90:91], v[92:93], s[12:13], v[90:91] op_sel_hi:[1,0,1]
	global_load_dwordx2 v[92:93], v33, s[18:19]
	global_load_dwordx2 v[130:131], v31, s[18:19] offset:2048
	v_pk_add_f32 v[96:97], v[96:97], v[106:107]
	v_add_u32_e32 v86, s11, v18
	v_pk_add_f32 v[96:97], v[96:97], v[110:111]
	s_waitcnt vmcnt(0)
	v_mul_f32_e32 v31, v92, v130
	v_fma_f32 v31, -v93, v131, v31
	v_pk_mul_f32 v[92:93], v[92:93], v[130:131] op_sel:[1,0] op_sel_hi:[0,1]
	v_add_f32_e32 v33, v92, v93
	v_mul_f32_e32 v72, v31, v89
	v_mul_f32_e32 v35, v33, v89
	v_fmac_f32_e32 v72, v88, v33
	v_or_b32_e32 v33, 32, v13
	v_mul_lo_u32 v33, v20, v33
	v_fma_f32 v70, v88, v31, -v35
	v_bfe_u32 v35, v33, 16, 8
	v_pk_mul_f32 v[92:93], v[90:91], v[72:73] op_sel_hi:[1,0]
	v_lshl_or_b32 v35, v35, 3, v21
	v_pk_fma_f32 v[88:89], v[90:91], v[70:71], v[92:93] op_sel:[0,0,1] op_sel_hi:[1,1,0]
	v_pk_fma_f32 v[90:91], v[90:91], v[70:71], v[92:93] op_sel:[0,0,1] op_sel_hi:[1,0,0] neg_lo:[0,0,1] neg_hi:[0,0,1]
	global_load_dwordx2 v[92:93], v35, s[18:19]
	v_lshlrev_b32_sdwa v35, v17, v33 dst_sel:DWORD dst_unused:UNUSED_PAD src0_sel:DWORD src1_sel:BYTE_0
	v_lshlrev_b32_sdwa v33, v17, v33 dst_sel:DWORD dst_unused:UNUSED_PAD src0_sel:DWORD src1_sel:BYTE_1
	v_add_f32_e32 v31, v129, v123
	global_load_dwordx2 v[122:123], v35, s[18:19]
	global_load_dwordx2 v[130:131], v33, s[18:19] offset:2048
	v_sub_f32_e32 v72, v120, v128
	v_add_f32_e32 v31, v119, v31
	v_add_f32_e32 v72, v118, v72
	v_pk_add_f32 v[98:99], v[96:97], v[108:109]
	s_waitcnt vmcnt(0)
	v_mul_f32_e32 v35, v122, v131
	v_mul_f32_e32 v33, v123, v131
	v_fmac_f32_e32 v35, v123, v130
	v_fma_f32 v33, v122, v130, -v33
	v_mul_f32_e32 v70, v35, v93
	v_fma_f32 v70, v92, v33, -v70
	v_mul_f32_e32 v33, v33, v93
	v_fmac_f32_e32 v33, v92, v35
	v_mul_f32_e32 v35, v72, v33
	v_mul_f32_e32 v92, v31, v33
	v_or_b32_e32 v33, 16, v13
	v_mul_lo_u32 v33, v20, v33
	v_fma_f32 v93, v31, v70, -v35
	v_bfe_u32 v35, v33, 16, 8
	v_lshl_or_b32 v35, v35, 3, v21
	v_add_f32_e32 v31, v115, v117
	global_load_dwordx2 v[116:117], v35, s[18:19]
	v_lshlrev_b32_sdwa v35, v17, v33 dst_sel:DWORD dst_unused:UNUSED_PAD src0_sel:DWORD src1_sel:BYTE_0
	v_lshlrev_b32_sdwa v33, v17, v33 dst_sel:DWORD dst_unused:UNUSED_PAD src0_sel:DWORD src1_sel:BYTE_1
	global_load_dwordx2 v[118:119], v35, s[18:19]
	global_load_dwordx2 v[120:121], v33, s[18:19] offset:2048
	v_fmac_f32_e32 v92, v72, v70
	v_sub_f32_e32 v72, v112, v114
	v_add_f32_e32 v72, v94, v72
	v_add_f32_e32 v31, v95, v31
	v_mul_lo_u32 v13, v20, v13
	s_waitcnt vmcnt(0)
	v_mul_f32_e32 v35, v118, v121
	v_mul_f32_e32 v33, v119, v121
	v_fmac_f32_e32 v35, v119, v120
	v_fma_f32 v33, v118, v120, -v33
	v_mul_f32_e32 v70, v35, v117
	v_fma_f32 v70, v116, v33, -v70
	v_mul_f32_e32 v33, v33, v117
	v_fmac_f32_e32 v33, v116, v35
	v_mul_f32_e32 v35, v72, v33
	v_fma_f32 v95, v31, v70, -v35
	v_mul_f32_e32 v94, v31, v33
	v_bfe_u32 v31, v13, 16, 8
	v_lshl_or_b32 v31, v31, 3, v21
	global_load_dwordx2 v[96:97], v31, s[18:19]
	v_lshlrev_b32_sdwa v31, v17, v13 dst_sel:DWORD dst_unused:UNUSED_PAD src0_sel:DWORD src1_sel:BYTE_0
	v_lshlrev_b32_sdwa v13, v17, v13 dst_sel:DWORD dst_unused:UNUSED_PAD src0_sel:DWORD src1_sel:BYTE_1
	global_load_dwordx2 v[106:107], v31, s[18:19]
	global_load_dwordx2 v[108:109], v13, s[18:19] offset:2048
	v_fmac_f32_e32 v94, v72, v70
	s_waitcnt vmcnt(0)
	v_mul_f32_e32 v13, v106, v108
	v_fma_f32 v13, -v107, v109, v13
	v_pk_mul_f32 v[106:107], v[106:107], v[108:109] op_sel:[1,0] op_sel_hi:[0,1]
	v_add_f32_e32 v31, v106, v107
	v_mul_f32_e32 v33, v31, v97
	v_mul_f32_e32 v72, v13, v97
	v_fma_f32 v70, v96, v13, -v33
	v_fmac_f32_e32 v72, v96, v31
	v_and_b32_e32 v13, 60, v29
	v_pk_mul_f32 v[106:107], v[98:99], v[72:73] op_sel_hi:[1,0]
	v_lshlrev_b32_e32 v13, 3, v13
	v_pk_fma_f32 v[96:97], v[98:99], v[70:71], v[106:107] op_sel:[0,0,1] op_sel_hi:[1,1,0]
	v_pk_fma_f32 v[98:99], v[98:99], v[70:71], v[106:107] op_sel:[0,0,1] op_sel_hi:[1,0,0] neg_lo:[0,0,1] neg_hi:[0,0,1]
	global_load_dwordx4 v[106:109], v13, s[6:7] offset:112
	global_load_dwordx4 v[114:117], v13, s[6:7] offset:96
	v_mov_b32_e32 v70, v83
	v_or_b32_e32 v29, 64, v19
	v_mul_lo_u32 v31, v20, v29
	v_bfe_u32 v33, v31, 16, 8
	v_lshl_or_b32 v33, v33, 3, v21
	v_mov_b32_e32 v97, v99
	s_waitcnt vmcnt(0)
	v_pk_mul_f32 v[110:111], v[70:71], v[114:115] op_sel_hi:[0,1]
	v_mov_b32_e32 v70, v75
	v_pk_mul_f32 v[104:105], v[104:105], v[116:117] op_sel_hi:[0,1]
	v_pk_fma_f32 v[112:113], v[70:71], v[114:115], v[110:111] op_sel:[0,0,1] op_sel_hi:[1,1,0]
	v_pk_fma_f32 v[110:111], v[70:71], v[114:115], v[110:111] op_sel:[0,0,1] op_sel_hi:[0,1,0] neg_lo:[1,0,0] neg_hi:[1,0,0]
	v_pk_fma_f32 v[114:115], v[102:103], v[116:117], v[104:105] op_sel:[0,0,1] op_sel_hi:[1,1,0]
	v_pk_fma_f32 v[102:103], v[102:103], v[116:117], v[104:105] op_sel:[0,0,1] op_sel_hi:[0,1,0] neg_lo:[1,0,0] neg_hi:[1,0,0]
	v_pk_mul_f32 v[104:105], v[12:13], v[108:109] op_sel_hi:[0,1]
	v_pk_fma_f32 v[12:13], v[100:101], v[108:109], v[104:105] op_sel:[0,0,1] op_sel_hi:[1,1,0]
	v_pk_fma_f32 v[100:101], v[100:101], v[108:109], v[104:105] op_sel:[0,0,1] op_sel_hi:[0,1,0] neg_lo:[1,0,0] neg_hi:[1,0,0]
	v_mov_b32_e32 v70, v77
	v_mov_b32_e32 v13, v101
	v_pk_mul_f32 v[100:101], v[70:71], v[106:107] op_sel_hi:[0,1]
	v_mov_b32_e32 v70, v69
	v_pk_fma_f32 v[116:117], v[70:71], v[106:107], v[100:101] op_sel:[0,0,1] op_sel_hi:[1,1,0]
	v_pk_fma_f32 v[100:101], v[70:71], v[106:107], v[100:101] op_sel:[0,0,1] op_sel_hi:[0,1,0] neg_lo:[1,0,0] neg_hi:[1,0,0]
	v_mov_b32_e32 v113, v111
	v_mov_b32_e32 v115, v103
	;; [unrolled: 1-line block ×3, first 2 shown]
	v_pk_add_f32 v[102:103], v[112:113], v[114:115] neg_lo:[0,1] neg_hi:[0,1]
	v_pk_add_f32 v[100:101], v[12:13], v[116:117] neg_lo:[0,1] neg_hi:[0,1]
	;; [unrolled: 1-line block ×3, first 2 shown]
	v_pk_add_f32 v[100:101], v[102:103], v[100:101]
	v_pk_add_f32 v[102:103], v[114:115], v[116:117]
	v_pk_add_f32 v[106:107], v[114:115], v[116:117] neg_lo:[0,1] neg_hi:[0,1]
	v_pk_fma_f32 v[102:103], v[102:103], 0.5, v[10:11] op_sel_hi:[1,0,1] neg_lo:[1,0,0] neg_hi:[1,0,0]
	v_pk_mul_f32 v[110:111], v[100:101], s[12:13] op_sel_hi:[1,0]
	v_pk_fma_f32 v[122:123], v[104:105], s[14:15], v[102:103] op_sel:[1,0,0] op_sel_hi:[0,0,1]
	v_pk_fma_f32 v[118:119], v[104:105], s[14:15], v[102:103] op_sel:[1,0,0] op_sel_hi:[0,0,1] neg_lo:[1,0,0] neg_hi:[1,0,0]
	v_pk_fma_f32 v[102:103], v[106:107], s[16:17], v[122:123] op_sel:[1,0,0] op_sel_hi:[0,0,1]
	v_pk_fma_f32 v[108:109], v[106:107], s[16:17], v[118:119] op_sel:[1,0,0] op_sel_hi:[0,0,1] neg_lo:[1,0,0] neg_hi:[1,0,0]
	v_mov_b32_e32 v103, v109
	v_pk_fma_f32 v[102:103], v[100:101], s[12:13], v[102:103] op_sel_hi:[1,0,1]
	global_load_dwordx2 v[100:101], v33, s[18:19]
	v_lshlrev_b32_sdwa v33, v17, v31 dst_sel:DWORD dst_unused:UNUSED_PAD src0_sel:DWORD src1_sel:BYTE_0
	v_lshlrev_b32_sdwa v31, v17, v31 dst_sel:DWORD dst_unused:UNUSED_PAD src0_sel:DWORD src1_sel:BYTE_1
	global_load_dwordx2 v[108:109], v33, s[18:19]
	global_load_dwordx2 v[128:129], v31, s[18:19] offset:2048
	v_pk_add_f32 v[130:131], v[112:113], v[12:13]
	v_pk_mul_f32 v[120:121], v[106:107], s[16:17] op_sel:[1,0] op_sel_hi:[0,0]
	v_pk_fma_f32 v[130:131], v[130:131], 0.5, v[10:11] op_sel_hi:[1,0,1] neg_lo:[1,0,0] neg_hi:[1,0,0]
	v_pk_mul_f32 v[134:135], v[104:105], s[16:17] op_sel:[1,0] op_sel_hi:[0,0]
	v_pk_fma_f32 v[132:133], v[106:107], s[14:15], v[130:131] op_sel:[1,0,0] op_sel_hi:[0,0,1] neg_lo:[1,0,0] neg_hi:[1,0,0]
	v_pk_fma_f32 v[130:131], v[106:107], s[14:15], v[130:131] op_sel:[1,0,0] op_sel_hi:[0,0,1]
	v_pk_fma_f32 v[106:107], v[104:105], s[16:17], v[132:133] op_sel:[1,0,0] op_sel_hi:[0,0,1]
	v_pk_fma_f32 v[104:105], v[104:105], s[16:17], v[130:131] op_sel:[1,0,0] op_sel_hi:[0,0,1] neg_lo:[1,0,0] neg_hi:[1,0,0]
	v_mov_b32_e32 v107, v105
	v_sub_f32_e32 v75, v130, v134
	v_sub_f32_e32 v77, v118, v120
	v_add_f32_e32 v77, v110, v77
	v_pk_add_f32 v[10:11], v[10:11], v[112:113]
	s_waitcnt vmcnt(0)
	v_mul_f32_e32 v31, v108, v128
	v_fma_f32 v31, -v109, v129, v31
	v_pk_mul_f32 v[108:109], v[108:109], v[128:129] op_sel:[1,0] op_sel_hi:[0,1]
	v_add_f32_e32 v33, v108, v109
	v_mul_f32_e32 v35, v33, v101
	v_fma_f32 v70, v100, v31, -v35
	v_mul_f32_e32 v72, v31, v101
	v_or_b32_e32 v31, 48, v19
	v_fmac_f32_e32 v72, v100, v33
	v_mul_lo_u32 v33, v20, v31
	v_pk_mul_f32 v[108:109], v[102:103], v[72:73] op_sel_hi:[1,0]
	v_bfe_u32 v35, v33, 16, 8
	v_pk_fma_f32 v[100:101], v[102:103], v[70:71], v[108:109] op_sel:[0,0,1] op_sel_hi:[1,1,0]
	v_pk_fma_f32 v[102:103], v[102:103], v[70:71], v[108:109] op_sel:[0,0,1] op_sel_hi:[1,0,0] neg_lo:[0,0,1] neg_hi:[0,0,1]
	v_pk_add_f32 v[108:109], v[114:115], v[112:113] neg_lo:[0,1] neg_hi:[0,1]
	v_pk_add_f32 v[128:129], v[116:117], v[12:13] neg_lo:[0,1] neg_hi:[0,1]
	v_lshl_or_b32 v35, v35, 3, v21
	v_pk_add_f32 v[128:129], v[108:109], v[128:129]
	global_load_dwordx2 v[104:105], v35, s[18:19]
	v_lshlrev_b32_sdwa v35, v17, v33 dst_sel:DWORD dst_unused:UNUSED_PAD src0_sel:DWORD src1_sel:BYTE_0
	v_lshlrev_b32_sdwa v33, v17, v33 dst_sel:DWORD dst_unused:UNUSED_PAD src0_sel:DWORD src1_sel:BYTE_1
	v_pk_mul_f32 v[108:109], v[128:129], s[12:13] op_sel_hi:[1,0]
	v_pk_fma_f32 v[106:107], v[128:129], s[12:13], v[106:107] op_sel_hi:[1,0,1]
	global_load_dwordx2 v[128:129], v35, s[18:19]
	global_load_dwordx2 v[136:137], v33, s[18:19] offset:2048
	v_add_f32_e32 v75, v108, v75
	v_pk_add_f32 v[10:11], v[10:11], v[114:115]
	v_mov_b32_e32 v102, v73
	v_pk_add_f32 v[10:11], v[10:11], v[116:117]
	v_mov_b32_e32 v101, v103
	v_pk_add_f32 v[10:11], v[10:11], v[12:13]
	s_waitcnt vmcnt(0)
	v_mul_f32_e32 v33, v128, v136
	v_fma_f32 v33, -v129, v137, v33
	v_pk_mul_f32 v[128:129], v[128:129], v[136:137] op_sel:[1,0] op_sel_hi:[0,1]
	v_add_f32_e32 v35, v128, v129
	v_mul_f32_e32 v69, v35, v105
	v_fma_f32 v70, v104, v33, -v69
	v_mul_f32_e32 v72, v33, v105
	v_add_f32_e32 v33, v135, v133
	v_fmac_f32_e32 v72, v104, v35
	v_add_f32_e32 v35, v109, v33
	v_or_b32_e32 v33, 32, v19
	v_pk_mul_f32 v[128:129], v[106:107], v[72:73] op_sel_hi:[1,0]
	v_mul_lo_u32 v69, v20, v33
	v_pk_fma_f32 v[104:105], v[106:107], v[70:71], v[128:129] op_sel:[0,0,1] op_sel_hi:[1,1,0]
	v_pk_fma_f32 v[106:107], v[106:107], v[70:71], v[128:129] op_sel:[0,0,1] op_sel_hi:[1,0,0] neg_lo:[0,0,1] neg_hi:[0,0,1]
	v_bfe_u32 v70, v69, 16, 8
	v_lshl_or_b32 v70, v70, 3, v21
	global_load_dwordx2 v[128:129], v70, s[18:19]
	v_lshlrev_b32_sdwa v70, v17, v69 dst_sel:DWORD dst_unused:UNUSED_PAD src0_sel:DWORD src1_sel:BYTE_0
	v_lshlrev_b32_sdwa v69, v17, v69 dst_sel:DWORD dst_unused:UNUSED_PAD src0_sel:DWORD src1_sel:BYTE_1
	global_load_dwordx2 v[132:133], v70, s[18:19]
	global_load_dwordx2 v[136:137], v69, s[18:19] offset:2048
	v_mov_b32_e32 v105, v107
	s_waitcnt vmcnt(0)
	v_mul_f32_e32 v70, v132, v137
	v_mul_f32_e32 v69, v133, v137
	v_fmac_f32_e32 v70, v133, v136
	v_fma_f32 v69, v132, v136, -v69
	v_mul_f32_e32 v72, v70, v129
	v_fma_f32 v72, v128, v69, -v72
	v_mul_f32_e32 v69, v69, v129
	v_fmac_f32_e32 v69, v128, v70
	v_mul_f32_e32 v70, v75, v69
	v_fma_f32 v109, v35, v72, -v70
	v_mul_f32_e32 v108, v35, v69
	v_add_f32_e32 v35, v121, v123
	v_add_f32_e32 v69, v111, v35
	v_or_b32_e32 v35, 16, v19
	v_mul_lo_u32 v70, v20, v35
	v_fmac_f32_e32 v108, v75, v72
	v_bfe_u32 v72, v70, 16, 8
	v_lshl_or_b32 v72, v72, 3, v21
	global_load_dwordx2 v[122:123], v72, s[18:19]
	v_lshlrev_b32_sdwa v72, v17, v70 dst_sel:DWORD dst_unused:UNUSED_PAD src0_sel:DWORD src1_sel:BYTE_0
	v_lshlrev_b32_sdwa v70, v17, v70 dst_sel:DWORD dst_unused:UNUSED_PAD src0_sel:DWORD src1_sel:BYTE_1
	global_load_dwordx2 v[128:129], v72, s[18:19]
	global_load_dwordx2 v[130:131], v70, s[18:19] offset:2048
	s_waitcnt vmcnt(0)
	v_mul_f32_e32 v72, v128, v131
	v_mul_f32_e32 v70, v129, v131
	v_fmac_f32_e32 v72, v129, v130
	v_fma_f32 v70, v128, v130, -v70
	v_mul_f32_e32 v75, v72, v123
	v_fma_f32 v75, v122, v70, -v75
	v_mul_f32_e32 v70, v70, v123
	v_fmac_f32_e32 v70, v122, v72
	v_mul_f32_e32 v72, v77, v70
	v_fma_f32 v111, v69, v75, -v72
	v_mul_f32_e32 v110, v69, v70
	v_mul_lo_u32 v69, v20, v19
	v_bfe_u32 v12, v69, 16, 8
	v_lshl_or_b32 v12, v12, 3, v21
	v_lshlrev_b32_sdwa v70, v17, v69 dst_sel:DWORD dst_unused:UNUSED_PAD src0_sel:DWORD src1_sel:BYTE_0
	v_lshlrev_b32_sdwa v69, v17, v69 dst_sel:DWORD dst_unused:UNUSED_PAD src0_sel:DWORD src1_sel:BYTE_1
	global_load_dwordx2 v[12:13], v12, s[18:19]
	v_fmac_f32_e32 v110, v77, v75
	global_load_dwordx2 v[114:115], v69, s[18:19] offset:2048
	global_load_dwordx2 v[112:113], v70, s[18:19]
	s_waitcnt vmcnt(0)
	v_mul_f32_e32 v69, v112, v114
	v_fma_f32 v69, -v113, v115, v69
	v_pk_mul_f32 v[112:113], v[112:113], v[114:115] op_sel:[1,0] op_sel_hi:[0,1]
	v_add_f32_e32 v75, v112, v113
	v_mul_f32_e32 v72, v69, v13
	v_mul_f32_e32 v70, v75, v13
	v_fmac_f32_e32 v72, v12, v75
	v_fma_f32 v70, v12, v69, -v70
	v_pk_mul_f32 v[12:13], v[10:11], v[72:73] op_sel_hi:[1,0]
	s_nop 0
	v_pk_fma_f32 v[112:113], v[10:11], v[70:71], v[12:13] op_sel:[0,0,1] op_sel_hi:[1,1,0]
	v_pk_fma_f32 v[114:115], v[10:11], v[70:71], v[12:13] op_sel:[0,0,1] op_sel_hi:[1,0,0] neg_lo:[0,0,1] neg_hi:[0,0,1]
	v_mov_b32_e32 v10, 0x50
	v_cndmask_b32_e64 v10, 0, v10, s[0:1]
	v_or_b32_e32 v77, v124, v10
	v_and_b32_e32 v10, 28, v27
	v_lshlrev_b32_e32 v75, 3, v10
	v_or_b32_e32 v10, 64, v124
	v_mul_lo_u32 v12, v20, v10
	v_bfe_u32 v10, v12, 16, 8
	v_lshl_or_b32 v10, v10, 3, v21
	v_lshlrev_b32_sdwa v27, v17, v12 dst_sel:DWORD dst_unused:UNUSED_PAD src0_sel:DWORD src1_sel:BYTE_0
	global_load_dwordx2 v[10:11], v10, s[18:19]
	v_lshlrev_b32_sdwa v69, v17, v12 dst_sel:DWORD dst_unused:UNUSED_PAD src0_sel:DWORD src1_sel:BYTE_1
	global_load_dwordx2 v[12:13], v27, s[18:19]
	global_load_dwordx2 v[116:117], v69, s[18:19] offset:2048
	v_mov_b32_e32 v113, v115
	s_waitcnt vmcnt(0)
	v_mul_f32_e32 v27, v12, v116
	v_fma_f32 v27, -v13, v117, v27
	v_pk_mul_f32 v[12:13], v[12:13], v[116:117] op_sel:[1,0] op_sel_hi:[0,1]
	v_add_f32_e32 v12, v12, v13
	v_mul_f32_e32 v13, v12, v11
	v_mul_f32_e32 v80, v27, v11
	v_fma_f32 v78, v10, v27, -v13
	v_fmac_f32_e32 v80, v10, v12
	v_or_b32_e32 v10, 48, v124
	v_mul_lo_u32 v12, v20, v10
	v_bfe_u32 v10, v12, 16, 8
	v_lshl_or_b32 v10, v10, 3, v21
	v_lshlrev_b32_sdwa v27, v17, v12 dst_sel:DWORD dst_unused:UNUSED_PAD src0_sel:DWORD src1_sel:BYTE_0
	global_load_dwordx2 v[10:11], v10, s[18:19]
	v_lshlrev_b32_sdwa v69, v17, v12 dst_sel:DWORD dst_unused:UNUSED_PAD src0_sel:DWORD src1_sel:BYTE_1
	global_load_dwordx2 v[12:13], v27, s[18:19]
	global_load_dwordx2 v[116:117], v69, s[18:19] offset:2048
	s_waitcnt vmcnt(0)
	v_mul_f32_e32 v27, v12, v116
	v_fma_f32 v27, -v13, v117, v27
	v_pk_mul_f32 v[12:13], v[12:13], v[116:117] op_sel:[1,0] op_sel_hi:[0,1]
	v_add_f32_e32 v12, v12, v13
	v_mul_f32_e32 v13, v12, v11
	v_mul_f32_e32 v72, v27, v11
	v_fma_f32 v70, v10, v27, -v13
	v_fmac_f32_e32 v72, v10, v12
	v_or_b32_e32 v10, 32, v124
	v_mul_lo_u32 v27, v20, v10
	v_bfe_u32 v10, v27, 16, 8
	v_lshl_or_b32 v10, v10, 3, v21
	v_lshlrev_b32_sdwa v12, v17, v27 dst_sel:DWORD dst_unused:UNUSED_PAD src0_sel:DWORD src1_sel:BYTE_0
	v_lshlrev_b32_sdwa v27, v17, v27 dst_sel:DWORD dst_unused:UNUSED_PAD src0_sel:DWORD src1_sel:BYTE_1
	global_load_dwordx2 v[10:11], v10, s[18:19]
	s_nop 0
	global_load_dwordx2 v[12:13], v12, s[18:19]
	s_nop 0
	global_load_dwordx2 v[116:117], v27, s[18:19] offset:2048
	s_waitcnt vmcnt(0)
	v_mul_f32_e32 v27, v13, v117
	v_fma_f32 v69, v12, v116, -v27
	v_mul_f32_e32 v12, v12, v117
	v_fmac_f32_e32 v12, v13, v116
	v_mul_f32_e32 v13, v12, v11
	v_fma_f32 v27, v10, v69, -v13
	v_mul_f32_e32 v69, v69, v11
	v_fmac_f32_e32 v69, v10, v12
	v_or_b32_e32 v10, 16, v124
	v_mul_lo_u32 v83, v20, v10
	v_bfe_u32 v10, v83, 16, 8
	v_lshl_or_b32 v10, v10, 3, v21
	v_lshlrev_b32_sdwa v12, v17, v83 dst_sel:DWORD dst_unused:UNUSED_PAD src0_sel:DWORD src1_sel:BYTE_0
	v_lshlrev_b32_sdwa v83, v17, v83 dst_sel:DWORD dst_unused:UNUSED_PAD src0_sel:DWORD src1_sel:BYTE_1
	global_load_dwordx2 v[10:11], v10, s[18:19]
	s_nop 0
	global_load_dwordx2 v[12:13], v12, s[18:19]
	s_nop 0
	global_load_dwordx2 v[116:117], v83, s[18:19] offset:2048
	s_waitcnt vmcnt(0)
	v_mul_f32_e32 v83, v13, v117
	v_fma_f32 v83, v12, v116, -v83
	v_mul_f32_e32 v12, v12, v117
	v_fmac_f32_e32 v12, v13, v116
	v_mul_f32_e32 v89, v83, v11
	v_mul_f32_e32 v13, v12, v11
	v_fmac_f32_e32 v89, v10, v12
	v_mul_lo_u32 v12, v20, v124
	v_fma_f32 v85, v10, v83, -v13
	v_bfe_u32 v10, v12, 16, 8
	v_lshl_or_b32 v10, v10, 3, v21
	v_lshlrev_b32_sdwa v83, v17, v12 dst_sel:DWORD dst_unused:UNUSED_PAD src0_sel:DWORD src1_sel:BYTE_0
	global_load_dwordx2 v[10:11], v10, s[18:19]
	v_lshlrev_b32_sdwa v17, v17, v12 dst_sel:DWORD dst_unused:UNUSED_PAD src0_sel:DWORD src1_sel:BYTE_1
	global_load_dwordx2 v[12:13], v83, s[18:19]
	global_load_dwordx2 v[20:21], v17, s[18:19] offset:2048
	v_mad_u64_u32 v[116:117], s[0:1], s10, v77, v[86:87]
	v_mov_b32_e32 v117, 0
	v_lshl_add_u64 v[118:119], v[116:117], 3, s[8:9]
	s_waitcnt vmcnt(0)
	v_mul_f32_e32 v17, v12, v20
	v_fma_f32 v17, -v13, v21, v17
	v_pk_mul_f32 v[12:13], v[12:13], v[20:21] op_sel:[1,0] op_sel_hi:[0,1]
	v_add_f32_e32 v12, v12, v13
	v_mul_f32_e32 v13, v11, v12
	v_mul_f32_e32 v98, v11, v17
	v_fma_f32 v90, v10, v17, -v13
	v_fmac_f32_e32 v98, v10, v12
	v_add_u32_e32 v10, 16, v77
	v_mad_u64_u32 v[10:11], s[0:1], s10, v10, v[86:87]
	v_mov_b32_e32 v11, v117
	v_lshl_add_u64 v[124:125], v[10:11], 3, s[8:9]
	v_or_b32_e32 v10, 32, v77
	v_mad_u64_u32 v[10:11], s[0:1], s10, v10, v[86:87]
	v_mov_b32_e32 v11, v117
	v_lshl_add_u64 v[20:21], v[10:11], 3, s[8:9]
	v_add_u32_e32 v10, 48, v77
	v_mad_u64_u32 v[10:11], s[0:1], s10, v10, v[86:87]
	v_mov_b32_e32 v11, v117
	v_lshl_add_u64 v[120:121], v[10:11], 3, s[8:9]
	v_add_u32_e32 v10, 64, v77
	v_mad_u64_u32 v[10:11], s[0:1], s10, v10, v[86:87]
	v_mov_b32_e32 v11, v117
	v_lshl_add_u64 v[122:123], v[10:11], 3, s[8:9]
	global_load_dwordx4 v[10:13], v75, s[6:7] offset:112
	global_load_dwordx4 v[128:131], v75, s[6:7] offset:96
	s_waitcnt vmcnt(1)
	v_pk_mul_f32 v[76:77], v[76:77], v[10:11] op_sel_hi:[0,1]
	s_waitcnt vmcnt(0)
	v_pk_mul_f32 v[82:83], v[82:83], v[128:129] op_sel_hi:[0,1]
	v_pk_fma_f32 v[132:133], v[74:75], v[128:129], v[82:83] op_sel:[0,0,1] op_sel_hi:[1,1,0]
	v_pk_fma_f32 v[74:75], v[74:75], v[128:129], v[82:83] op_sel:[0,0,1] op_sel_hi:[0,1,0] neg_lo:[1,0,0] neg_hi:[1,0,0]
	v_mov_b32_e32 v82, v81
	v_mov_b32_e32 v74, v73
	v_pk_mul_f32 v[82:83], v[82:83], v[12:13] op_sel_hi:[0,1]
	v_mov_b32_e32 v133, v75
	v_pk_fma_f32 v[74:75], v[74:75], v[12:13], v[82:83] op_sel:[0,0,1] op_sel_hi:[1,1,0]
	v_pk_fma_f32 v[12:13], v[102:103], v[12:13], v[82:83] op_sel:[0,0,1] op_sel_hi:[0,1,0] neg_lo:[1,0,0] neg_hi:[1,0,0]
	v_mov_b32_e32 v82, v79
	v_mov_b32_e32 v12, v71
	v_pk_mul_f32 v[82:83], v[82:83], v[130:131] op_sel_hi:[0,1]
	v_mov_b32_e32 v102, v71
	v_mov_b32_e32 v75, v13
	v_pk_fma_f32 v[12:13], v[12:13], v[130:131], v[82:83] op_sel:[0,0,1] op_sel_hi:[1,1,0]
	v_pk_fma_f32 v[82:83], v[102:103], v[130:131], v[82:83] op_sel:[0,0,1] op_sel_hi:[0,1,0] neg_lo:[1,0,0] neg_hi:[1,0,0]
	v_mov_b32_e32 v13, v83
	v_pk_fma_f32 v[82:83], v[68:69], v[10:11], v[76:77] op_sel:[0,0,1] op_sel_hi:[1,1,0]
	v_pk_fma_f32 v[10:11], v[68:69], v[10:11], v[76:77] op_sel:[0,0,1] op_sel_hi:[0,1,0] neg_lo:[1,0,0] neg_hi:[1,0,0]
	v_mov_b32_e32 v83, v11
	v_pk_add_f32 v[134:135], v[12:13], v[82:83]
	v_pk_add_f32 v[136:137], v[132:133], v[74:75] neg_lo:[0,1] neg_hi:[0,1]
	v_pk_fma_f32 v[134:135], v[134:135], 0.5, v[36:37] op_sel_hi:[1,0,1] neg_lo:[1,0,0] neg_hi:[1,0,0]
	v_pk_add_f32 v[128:129], v[12:13], v[82:83] neg_lo:[0,1] neg_hi:[0,1]
	v_pk_fma_f32 v[138:139], v[136:137], s[14:15], v[134:135] op_sel:[1,0,0] op_sel_hi:[0,0,1]
	v_pk_fma_f32 v[134:135], v[136:137], s[14:15], v[134:135] op_sel:[1,0,0] op_sel_hi:[0,0,1] neg_lo:[1,0,0] neg_hi:[1,0,0]
	v_pk_add_f32 v[10:11], v[132:133], v[12:13] neg_lo:[0,1] neg_hi:[0,1]
	v_pk_add_f32 v[76:77], v[74:75], v[82:83] neg_lo:[0,1] neg_hi:[0,1]
	v_pk_fma_f32 v[140:141], v[128:129], s[16:17], v[138:139] op_sel:[1,0,0] op_sel_hi:[0,0,1]
	v_pk_fma_f32 v[142:143], v[128:129], s[16:17], v[134:135] op_sel:[1,0,0] op_sel_hi:[0,0,1] neg_lo:[1,0,0] neg_hi:[1,0,0]
	v_pk_add_f32 v[10:11], v[10:11], v[76:77]
	v_mov_b32_e32 v141, v143
	v_pk_mul_f32 v[76:77], v[10:11], s[12:13] op_sel_hi:[1,0]
	v_pk_fma_f32 v[10:11], v[10:11], s[12:13], v[140:141] op_sel_hi:[1,0,1]
	v_pk_mul_f32 v[130:131], v[128:129], s[16:17] op_sel:[1,0] op_sel_hi:[0,0]
	v_pk_mul_f32 v[80:81], v[10:11], v[80:81] op_sel_hi:[1,0]
	v_sub_f32_e32 v17, v134, v130
	v_pk_fma_f32 v[140:141], v[10:11], v[78:79], v[80:81] op_sel:[0,0,1] op_sel_hi:[1,1,0]
	v_pk_fma_f32 v[10:11], v[10:11], v[78:79], v[80:81] op_sel:[0,0,1] op_sel_hi:[1,0,0] neg_lo:[0,0,1] neg_hi:[0,0,1]
	v_pk_add_f32 v[78:79], v[36:37], v[132:133]
	v_add_f32_e32 v10, v131, v139
	v_pk_add_f32 v[78:79], v[78:79], v[12:13]
	v_add_f32_e32 v10, v77, v10
	;; [unrolled: 2-line block ×3, first 2 shown]
	v_pk_add_f32 v[78:79], v[78:79], v[74:75]
	v_mul_f32_e32 v68, v17, v89
	v_pk_mul_f32 v[80:81], v[78:79], v[98:99] op_sel_hi:[1,0]
	v_mul_f32_e32 v76, v10, v89
	v_pk_fma_f32 v[130:131], v[78:79], v[90:91], v[80:81] op_sel:[0,0,1] op_sel_hi:[1,1,0]
	v_pk_fma_f32 v[78:79], v[78:79], v[90:91], v[80:81] op_sel:[0,0,1] op_sel_hi:[1,0,0] neg_lo:[0,0,1] neg_hi:[0,0,1]
	v_fma_f32 v77, v10, v85, -v68
	v_fmac_f32_e32 v76, v17, v85
	v_mov_b32_e32 v131, v79
	global_store_dwordx2 v[118:119], v[130:131], off
	global_store_dwordx2 v[124:125], v[76:77], off
	v_pk_add_f32 v[76:77], v[82:83], v[74:75] neg_lo:[0,1] neg_hi:[0,1]
	v_pk_add_f32 v[74:75], v[132:133], v[74:75]
	v_pk_add_f32 v[12:13], v[12:13], v[132:133] neg_lo:[0,1] neg_hi:[0,1]
	v_pk_fma_f32 v[36:37], v[74:75], 0.5, v[36:37] op_sel_hi:[1,0,1] neg_lo:[1,0,0] neg_hi:[1,0,0]
	v_pk_add_f32 v[12:13], v[12:13], v[76:77]
	v_pk_fma_f32 v[74:75], v[128:129], s[14:15], v[36:37] op_sel:[1,0,0] op_sel_hi:[0,0,1] neg_lo:[1,0,0] neg_hi:[1,0,0]
	v_pk_fma_f32 v[36:37], v[128:129], s[14:15], v[36:37] op_sel:[1,0,0] op_sel_hi:[0,0,1]
	v_pk_fma_f32 v[80:81], v[136:137], s[16:17], v[74:75] op_sel:[1,0,0] op_sel_hi:[0,0,1]
	v_pk_fma_f32 v[82:83], v[136:137], s[16:17], v[36:37] op_sel:[1,0,0] op_sel_hi:[0,0,1] neg_lo:[1,0,0] neg_hi:[1,0,0]
	v_mov_b32_e32 v81, v83
	v_pk_mul_f32 v[76:77], v[12:13], s[12:13] op_sel_hi:[1,0]
	v_pk_fma_f32 v[12:13], v[12:13], s[12:13], v[80:81] op_sel_hi:[1,0,1]
	v_pk_mul_f32 v[78:79], v[136:137], s[16:17] op_sel:[1,0] op_sel_hi:[0,0]
	v_pk_mul_f32 v[72:73], v[12:13], v[72:73] op_sel_hi:[1,0]
	v_add_f32_e32 v10, v79, v75
	v_pk_fma_f32 v[80:81], v[12:13], v[70:71], v[72:73] op_sel:[0,0,1] op_sel_hi:[1,1,0]
	v_pk_fma_f32 v[12:13], v[12:13], v[70:71], v[72:73] op_sel:[0,0,1] op_sel_hi:[1,0,0] neg_lo:[0,0,1] neg_hi:[0,0,1]
	v_add_f32_e32 v10, v77, v10
	v_sub_f32_e32 v12, v36, v78
	v_add_f32_e32 v12, v76, v12
	v_mul_f32_e32 v17, v12, v69
	v_fma_f32 v37, v10, v27, -v17
	v_mul_f32_e32 v36, v10, v69
	v_mov_b32_e32 v141, v11
	v_mad_u64_u32 v[10:11], s[0:1], s10, v19, v[86:87]
	v_mov_b32_e32 v11, v117
	v_fmac_f32_e32 v36, v12, v27
	v_mov_b32_e32 v81, v13
	v_lshl_add_u64 v[10:11], v[10:11], 3, s[8:9]
	global_store_dwordx2 v[20:21], v[36:37], off
	global_store_dwordx2 v[120:121], v[80:81], off
	;; [unrolled: 1-line block ×4, first 2 shown]
	v_mad_u64_u32 v[10:11], s[0:1], s10, v35, v[86:87]
	v_mov_b32_e32 v11, v117
	v_lshl_add_u64 v[10:11], v[10:11], 3, s[8:9]
	global_store_dwordx2 v[10:11], v[110:111], off
	v_mad_u64_u32 v[10:11], s[0:1], s10, v33, v[86:87]
	v_mov_b32_e32 v11, v117
	v_lshl_add_u64 v[10:11], v[10:11], 3, s[8:9]
	global_store_dwordx2 v[10:11], v[108:109], off
	;; [unrolled: 4-line block ×3, first 2 shown]
	v_mad_u64_u32 v[10:11], s[0:1], s10, v29, v[86:87]
	v_mov_b32_e32 v11, v117
	v_lshl_add_u64 v[10:11], v[10:11], 3, s[8:9]
	v_and_or_b32 v12, v25, 64, v126
	global_store_dwordx2 v[10:11], v[100:101], off
	v_mad_u64_u32 v[10:11], s[0:1], s10, v12, v[86:87]
	v_mov_b32_e32 v11, v117
	v_lshl_add_u64 v[10:11], v[10:11], 3, s[8:9]
	global_store_dwordx2 v[10:11], v[96:97], off
	v_add_u32_e32 v10, 16, v12
	v_mad_u64_u32 v[10:11], s[0:1], s10, v10, v[86:87]
	v_mov_b32_e32 v11, v117
	v_lshl_add_u64 v[10:11], v[10:11], 3, s[8:9]
	global_store_dwordx2 v[10:11], v[94:95], off
	v_or_b32_e32 v10, 32, v12
	v_mad_u64_u32 v[10:11], s[0:1], s10, v10, v[86:87]
	v_mov_b32_e32 v11, v117
	v_lshl_add_u64 v[10:11], v[10:11], 3, s[8:9]
	global_store_dwordx2 v[10:11], v[92:93], off
	v_add_u32_e32 v10, 48, v12
	v_mad_u64_u32 v[10:11], s[0:1], s10, v10, v[86:87]
	v_mov_b32_e32 v11, v117
	v_lshl_add_u64 v[10:11], v[10:11], 3, s[8:9]
	v_mov_b32_e32 v89, v91
	global_store_dwordx2 v[10:11], v[88:89], off
	v_add_u32_e32 v10, 64, v12
	v_mad_u64_u32 v[10:11], s[0:1], s10, v10, v[86:87]
	v_mov_b32_e32 v11, v117
	v_lshl_add_u64 v[10:11], v[10:11], 3, s[8:9]
	v_mov_b32_e32 v85, v87
	global_store_dwordx2 v[10:11], v[84:85], off
.LBB0_40:
	s_or_b64 exec, exec, s[4:5]
	v_cmp_lt_u32_e64 s[0:1], 37, v0
	v_cmp_gt_u32_e64 s[4:5], 38, v0
	v_cndmask_b32_e64 v10, 0, 1, s[2:3]
	s_or_b64 vcc, s[0:1], vcc
	v_cndmask_b32_e64 v0, 0, 1, s[4:5]
	v_cndmask_b32_e32 v0, v10, v0, vcc
	v_and_b32_e32 v0, 1, v0
	v_cmp_eq_u32_e32 vcc, 1, v0
	s_and_saveexec_b64 s[0:1], vcc
	s_cbranch_execz .LBB0_42
; %bb.41:
	s_waitcnt vmcnt(15)
	v_mul_f32_e32 v0, v44, v48
	v_fma_f32 v12, -v45, v49, v0
	v_pk_mul_f32 v[10:11], v[44:45], v[48:49] op_sel:[1,0] op_sel_hi:[0,1]
	v_add_f32_e32 v11, v10, v11
	s_waitcnt vmcnt(14)
	v_mul_f32_e32 v10, v12, v41
	v_mul_f32_e32 v0, v11, v41
	v_fmac_f32_e32 v10, v40, v11
	s_waitcnt vmcnt(12)
	v_mul_f32_e32 v11, v39, v55
	v_fma_f32 v0, v40, v12, -v0
	v_fma_f32 v11, v38, v54, -v11
	v_mul_f32_e32 v12, v38, v55
	v_fmac_f32_e32 v12, v39, v54
	s_waitcnt vmcnt(11)
	v_mul_f32_e32 v21, v11, v51
	v_mul_f32_e32 v13, v12, v51
	v_fmac_f32_e32 v21, v50, v12
	s_waitcnt vmcnt(9)
	v_mul_f32_e32 v12, v42, v47
	v_fma_f32 v19, v50, v11, -v13
	v_mul_f32_e32 v11, v43, v47
	v_fmac_f32_e32 v12, v43, v46
	v_fma_f32 v11, v42, v46, -v11
	s_waitcnt vmcnt(8)
	v_mul_f32_e32 v13, v12, v61
	s_waitcnt vmcnt(0)
	v_pk_mul_f32 v[34:35], v[34:35], v[6:7] op_sel_hi:[0,1]
	v_fma_f32 v39, v60, v11, -v13
	v_mul_f32_e32 v42, v11, v61
	v_mul_f32_e32 v11, v56, v58
	v_pk_fma_f32 v[40:41], v[28:29], v[6:7], v[34:35] op_sel:[0,0,1] op_sel_hi:[1,1,0]
	v_pk_fma_f32 v[6:7], v[28:29], v[6:7], v[34:35] op_sel:[0,0,1] op_sel_hi:[0,1,0] neg_lo:[1,0,0] neg_hi:[1,0,0]
	v_fmac_f32_e32 v42, v60, v12
	v_fma_f32 v11, -v57, v59, v11
	v_pk_mul_f32 v[12:13], v[56:57], v[58:59] op_sel:[1,0] op_sel_hi:[0,1]
	v_mov_b32_e32 v41, v7
	v_pk_mul_f32 v[6:7], v[32:33], v[8:9] op_sel_hi:[0,1]
	v_add_f32_e32 v13, v12, v13
	v_mul_f32_e32 v20, v11, v53
	v_pk_mul_f32 v[36:37], v[64:65], v[66:67] op_sel:[1,0] op_sel_hi:[0,1]
	v_pk_fma_f32 v[28:29], v[26:27], v[8:9], v[6:7] op_sel:[0,0,1] op_sel_hi:[1,1,0]
	v_pk_fma_f32 v[6:7], v[26:27], v[8:9], v[6:7] op_sel:[0,0,1] op_sel_hi:[0,1,0] neg_lo:[1,0,0] neg_hi:[1,0,0]
	v_mul_f32_e32 v12, v13, v53
	v_fmac_f32_e32 v20, v52, v13
	v_add_f32_e32 v13, v36, v37
	v_mov_b32_e32 v29, v7
	v_pk_mul_f32 v[6:7], v[30:31], v[2:3] op_sel_hi:[0,1]
	v_mul_f32_e32 v17, v13, v63
	v_pk_fma_f32 v[8:9], v[24:25], v[2:3], v[6:7] op_sel:[0,0,1] op_sel_hi:[1,1,0]
	v_pk_fma_f32 v[2:3], v[24:25], v[2:3], v[6:7] op_sel:[0,0,1] op_sel_hi:[0,1,0] neg_lo:[1,0,0] neg_hi:[1,0,0]
	v_mov_b32_e32 v9, v3
	v_pk_mul_f32 v[2:3], v[16:17], v[4:5] op_sel_hi:[0,1]
	v_pk_fma_f32 v[6:7], v[22:23], v[4:5], v[2:3] op_sel:[0,0,1] op_sel_hi:[1,1,0]
	v_pk_fma_f32 v[2:3], v[22:23], v[4:5], v[2:3] op_sel:[0,0,1] op_sel_hi:[0,1,0] neg_lo:[1,0,0] neg_hi:[1,0,0]
	v_fma_f32 v12, v52, v11, -v12
	v_mul_f32_e32 v11, v64, v66
	v_mov_b32_e32 v7, v3
	v_pk_add_f32 v[2:3], v[28:29], v[8:9]
	v_fma_f32 v11, -v65, v67, v11
	v_pk_fma_f32 v[2:3], v[2:3], 0.5, v[14:15] op_sel_hi:[1,0,1] neg_lo:[1,0,0] neg_hi:[1,0,0]
	v_pk_add_f32 v[4:5], v[40:41], v[6:7] neg_lo:[0,1] neg_hi:[0,1]
	s_mov_b32 s0, 0x3f737871
	v_pk_add_f32 v[24:25], v[28:29], v[8:9] neg_lo:[0,1] neg_hi:[0,1]
	s_mov_b32 s2, 0x3f167918
	v_pk_add_f32 v[30:31], v[40:41], v[28:29] neg_lo:[0,1] neg_hi:[0,1]
	v_pk_add_f32 v[32:33], v[6:7], v[8:9] neg_lo:[0,1] neg_hi:[0,1]
	v_fma_f32 v36, v62, v11, -v17
	v_pk_fma_f32 v[16:17], v[4:5], s[0:1], v[2:3] op_sel:[1,0,0] op_sel_hi:[0,0,1] neg_lo:[1,0,0] neg_hi:[1,0,0]
	v_pk_mul_f32 v[26:27], v[24:25], s[2:3] op_sel:[1,0] op_sel_hi:[0,0]
	v_pk_add_f32 v[30:31], v[30:31], v[32:33]
	s_mov_b32 s4, 0x3e9e377a
	v_pk_fma_f32 v[2:3], v[4:5], s[0:1], v[2:3] op_sel:[1,0,0] op_sel_hi:[0,0,1]
	v_mul_f32_e32 v38, v11, v63
	v_pk_fma_f32 v[16:17], v[24:25], s[2:3], v[16:17] op_sel:[1,0,0] op_sel_hi:[0,0,1] neg_lo:[1,0,0] neg_hi:[1,0,0]
	v_pk_mul_f32 v[32:33], v[30:31], s[4:5] op_sel_hi:[1,0]
	v_add_f32_e32 v11, v27, v3
	v_pk_fma_f32 v[2:3], v[24:25], s[2:3], v[2:3] op_sel:[1,0,0] op_sel_hi:[0,0,1]
	v_fmac_f32_e32 v38, v62, v13
	v_add_f32_e32 v13, v32, v16
	v_mov_b32_e32 v3, v17
	v_pk_add_f32 v[16:17], v[14:15], v[40:41]
	v_pk_fma_f32 v[2:3], v[30:31], s[4:5], v[2:3] op_sel_hi:[1,0,1]
	v_pk_add_f32 v[16:17], v[16:17], v[28:29]
	v_pk_add_f32 v[30:31], v[40:41], v[6:7]
	;; [unrolled: 1-line block ×3, first 2 shown]
	v_pk_fma_f32 v[14:15], v[30:31], 0.5, v[14:15] op_sel_hi:[1,0,1] neg_lo:[1,0,0] neg_hi:[1,0,0]
	v_pk_add_f32 v[16:17], v[16:17], v[6:7]
	v_pk_add_f32 v[28:29], v[28:29], v[40:41] neg_lo:[0,1] neg_hi:[0,1]
	v_pk_add_f32 v[6:7], v[8:9], v[6:7] neg_lo:[0,1] neg_hi:[0,1]
	v_add_f32_e32 v22, v33, v11
	v_pk_mul_f32 v[10:11], v[16:17], v[10:11] op_sel_hi:[1,0]
	v_pk_fma_f32 v[30:31], v[24:25], s[0:1], v[14:15] op_sel:[1,0,0] op_sel_hi:[0,0,1]
	v_pk_add_f32 v[6:7], v[28:29], v[6:7]
	v_pk_fma_f32 v[26:27], v[16:17], v[0:1], v[10:11] op_sel:[0,0,1] op_sel_hi:[1,1,0]
	v_pk_fma_f32 v[10:11], v[16:17], v[0:1], v[10:11] op_sel:[0,0,1] op_sel_hi:[1,0,0] neg_lo:[0,0,1] neg_hi:[0,0,1]
	v_mul_f32_e32 v0, v13, v21
	v_pk_mul_f32 v[32:33], v[4:5], s[2:3] op_sel:[1,0] op_sel_hi:[0,0]
	v_pk_fma_f32 v[30:31], v[4:5], s[2:3], v[30:31] op_sel:[1,0,0] op_sel_hi:[0,0,1] neg_lo:[1,0,0] neg_hi:[1,0,0]
	v_pk_mul_f32 v[8:9], v[6:7], s[4:5] op_sel_hi:[1,0]
	v_pk_fma_f32 v[14:15], v[24:25], s[0:1], v[14:15] op_sel:[1,0,0] op_sel_hi:[0,0,1] neg_lo:[1,0,0] neg_hi:[1,0,0]
	v_fma_f32 v17, v22, v19, -v0
	v_add_f32_e32 v0, v8, v30
	v_add_f32_e32 v8, v33, v15
	v_pk_fma_f32 v[4:5], v[4:5], s[2:3], v[14:15] op_sel:[1,0,0] op_sel_hi:[0,0,1]
	v_add_f32_e32 v8, v9, v8
	v_mov_b32_e32 v5, v31
	v_pk_fma_f32 v[4:5], v[6:7], s[4:5], v[4:5] op_sel_hi:[1,0,1]
	v_mul_f32_e32 v6, v8, v42
	v_fmac_f32_e32 v6, v0, v39
	v_mul_f32_e32 v0, v0, v42
	v_fma_f32 v7, v8, v39, -v0
	v_pk_mul_f32 v[8:9], v[4:5], v[20:21] op_sel_hi:[1,0]
	v_mul_f32_e32 v16, v22, v21
	v_pk_fma_f32 v[14:15], v[4:5], v[12:13], v[8:9] op_sel:[0,0,1] op_sel_hi:[1,1,0]
	v_pk_fma_f32 v[4:5], v[4:5], v[12:13], v[8:9] op_sel:[0,0,1] op_sel_hi:[1,0,0] neg_lo:[0,0,1] neg_hi:[0,0,1]
	v_pk_mul_f32 v[8:9], v[2:3], v[38:39] op_sel_hi:[1,0]
	v_fmac_f32_e32 v16, v13, v19
	v_pk_fma_f32 v[12:13], v[2:3], v[36:37], v[8:9] op_sel:[0,0,1] op_sel_hi:[1,1,0]
	v_pk_fma_f32 v[2:3], v[2:3], v[36:37], v[8:9] op_sel:[0,0,1] op_sel_hi:[1,0,0] neg_lo:[0,0,1] neg_hi:[0,0,1]
	v_and_or_b32 v1, v23, 64, v1
	v_add_u32_e32 v0, s11, v18
	v_mad_u64_u32 v[8:9], s[0:1], s10, v1, v[0:1]
	v_add_u32_e32 v2, 16, v1
	v_mov_b32_e32 v9, 0
	v_mov_b32_e32 v27, v11
	v_mad_u64_u32 v[10:11], s[0:1], s10, v2, v[0:1]
	v_mov_b32_e32 v11, v9
	v_lshl_add_u64 v[18:19], v[8:9], 3, s[8:9]
	v_lshl_add_u64 v[10:11], v[10:11], 3, s[8:9]
	v_or_b32_e32 v2, 32, v1
	global_store_dwordx2 v[18:19], v[26:27], off
	global_store_dwordx2 v[10:11], v[16:17], off
	v_mad_u64_u32 v[10:11], s[0:1], s10, v2, v[0:1]
	v_mov_b32_e32 v11, v9
	v_lshl_add_u64 v[10:11], v[10:11], 3, s[8:9]
	v_add_u32_e32 v2, 48, v1
	global_store_dwordx2 v[10:11], v[6:7], off
	v_mad_u64_u32 v[6:7], s[0:1], s10, v2, v[0:1]
	v_add_u32_e32 v1, 64, v1
	v_mad_u64_u32 v[0:1], s[0:1], s10, v1, v[0:1]
	v_mov_b32_e32 v7, v9
	v_mov_b32_e32 v1, v9
	v_lshl_add_u64 v[6:7], v[6:7], 3, s[8:9]
	v_mov_b32_e32 v15, v5
	v_lshl_add_u64 v[0:1], v[0:1], 3, s[8:9]
	v_mov_b32_e32 v13, v3
	global_store_dwordx2 v[6:7], v[14:15], off
	global_store_dwordx2 v[0:1], v[12:13], off
.LBB0_42:
	s_endpgm
	.section	.rodata,"a",@progbits
	.p2align	6, 0x0
	.amdhsa_kernel fft_rtc_back_len80_factors_4_4_5_wgs_190_tpt_5_halfLds_dim2_sp_ip_CI_sbcc_twdbase8_3step_dirReg_intrinsicReadWrite
		.amdhsa_group_segment_fixed_size 0
		.amdhsa_private_segment_fixed_size 0
		.amdhsa_kernarg_size 88
		.amdhsa_user_sgpr_count 2
		.amdhsa_user_sgpr_dispatch_ptr 0
		.amdhsa_user_sgpr_queue_ptr 0
		.amdhsa_user_sgpr_kernarg_segment_ptr 1
		.amdhsa_user_sgpr_dispatch_id 0
		.amdhsa_user_sgpr_kernarg_preload_length 0
		.amdhsa_user_sgpr_kernarg_preload_offset 0
		.amdhsa_user_sgpr_private_segment_size 0
		.amdhsa_uses_dynamic_stack 0
		.amdhsa_enable_private_segment 0
		.amdhsa_system_sgpr_workgroup_id_x 1
		.amdhsa_system_sgpr_workgroup_id_y 0
		.amdhsa_system_sgpr_workgroup_id_z 0
		.amdhsa_system_sgpr_workgroup_info 0
		.amdhsa_system_vgpr_workitem_id 0
		.amdhsa_next_free_vgpr 144
		.amdhsa_next_free_sgpr 21
		.amdhsa_accum_offset 144
		.amdhsa_reserve_vcc 1
		.amdhsa_float_round_mode_32 0
		.amdhsa_float_round_mode_16_64 0
		.amdhsa_float_denorm_mode_32 3
		.amdhsa_float_denorm_mode_16_64 3
		.amdhsa_dx10_clamp 1
		.amdhsa_ieee_mode 1
		.amdhsa_fp16_overflow 0
		.amdhsa_tg_split 0
		.amdhsa_exception_fp_ieee_invalid_op 0
		.amdhsa_exception_fp_denorm_src 0
		.amdhsa_exception_fp_ieee_div_zero 0
		.amdhsa_exception_fp_ieee_overflow 0
		.amdhsa_exception_fp_ieee_underflow 0
		.amdhsa_exception_fp_ieee_inexact 0
		.amdhsa_exception_int_div_zero 0
	.end_amdhsa_kernel
	.text
.Lfunc_end0:
	.size	fft_rtc_back_len80_factors_4_4_5_wgs_190_tpt_5_halfLds_dim2_sp_ip_CI_sbcc_twdbase8_3step_dirReg_intrinsicReadWrite, .Lfunc_end0-fft_rtc_back_len80_factors_4_4_5_wgs_190_tpt_5_halfLds_dim2_sp_ip_CI_sbcc_twdbase8_3step_dirReg_intrinsicReadWrite
                                        ; -- End function
	.section	.AMDGPU.csdata,"",@progbits
; Kernel info:
; codeLenInByte = 9212
; NumSgprs: 27
; NumVgprs: 144
; NumAgprs: 0
; TotalNumVgprs: 144
; ScratchSize: 0
; MemoryBound: 0
; FloatMode: 240
; IeeeMode: 1
; LDSByteSize: 0 bytes/workgroup (compile time only)
; SGPRBlocks: 3
; VGPRBlocks: 17
; NumSGPRsForWavesPerEU: 27
; NumVGPRsForWavesPerEU: 144
; AccumOffset: 144
; Occupancy: 3
; WaveLimiterHint : 1
; COMPUTE_PGM_RSRC2:SCRATCH_EN: 0
; COMPUTE_PGM_RSRC2:USER_SGPR: 2
; COMPUTE_PGM_RSRC2:TRAP_HANDLER: 0
; COMPUTE_PGM_RSRC2:TGID_X_EN: 1
; COMPUTE_PGM_RSRC2:TGID_Y_EN: 0
; COMPUTE_PGM_RSRC2:TGID_Z_EN: 0
; COMPUTE_PGM_RSRC2:TIDIG_COMP_CNT: 0
; COMPUTE_PGM_RSRC3_GFX90A:ACCUM_OFFSET: 35
; COMPUTE_PGM_RSRC3_GFX90A:TG_SPLIT: 0
	.text
	.p2alignl 6, 3212836864
	.fill 256, 4, 3212836864
	.type	__hip_cuid_d3a69ed6f7463e4c,@object ; @__hip_cuid_d3a69ed6f7463e4c
	.section	.bss,"aw",@nobits
	.globl	__hip_cuid_d3a69ed6f7463e4c
__hip_cuid_d3a69ed6f7463e4c:
	.byte	0                               ; 0x0
	.size	__hip_cuid_d3a69ed6f7463e4c, 1

	.ident	"AMD clang version 19.0.0git (https://github.com/RadeonOpenCompute/llvm-project roc-6.4.0 25133 c7fe45cf4b819c5991fe208aaa96edf142730f1d)"
	.section	".note.GNU-stack","",@progbits
	.addrsig
	.addrsig_sym __hip_cuid_d3a69ed6f7463e4c
	.amdgpu_metadata
---
amdhsa.kernels:
  - .agpr_count:     0
    .args:
      - .actual_access:  read_only
        .address_space:  global
        .offset:         0
        .size:           8
        .value_kind:     global_buffer
      - .address_space:  global
        .offset:         8
        .size:           8
        .value_kind:     global_buffer
      - .actual_access:  read_only
        .address_space:  global
        .offset:         16
        .size:           8
        .value_kind:     global_buffer
      - .actual_access:  read_only
        .address_space:  global
        .offset:         24
        .size:           8
        .value_kind:     global_buffer
      - .offset:         32
        .size:           8
        .value_kind:     by_value
      - .actual_access:  read_only
        .address_space:  global
        .offset:         40
        .size:           8
        .value_kind:     global_buffer
      - .actual_access:  read_only
        .address_space:  global
        .offset:         48
        .size:           8
        .value_kind:     global_buffer
      - .offset:         56
        .size:           4
        .value_kind:     by_value
      - .actual_access:  read_only
        .address_space:  global
        .offset:         64
        .size:           8
        .value_kind:     global_buffer
      - .actual_access:  read_only
        .address_space:  global
        .offset:         72
        .size:           8
        .value_kind:     global_buffer
      - .address_space:  global
        .offset:         80
        .size:           8
        .value_kind:     global_buffer
    .group_segment_fixed_size: 0
    .kernarg_segment_align: 8
    .kernarg_segment_size: 88
    .language:       OpenCL C
    .language_version:
      - 2
      - 0
    .max_flat_workgroup_size: 190
    .name:           fft_rtc_back_len80_factors_4_4_5_wgs_190_tpt_5_halfLds_dim2_sp_ip_CI_sbcc_twdbase8_3step_dirReg_intrinsicReadWrite
    .private_segment_fixed_size: 0
    .sgpr_count:     27
    .sgpr_spill_count: 0
    .symbol:         fft_rtc_back_len80_factors_4_4_5_wgs_190_tpt_5_halfLds_dim2_sp_ip_CI_sbcc_twdbase8_3step_dirReg_intrinsicReadWrite.kd
    .uniform_work_group_size: 1
    .uses_dynamic_stack: false
    .vgpr_count:     144
    .vgpr_spill_count: 0
    .wavefront_size: 64
amdhsa.target:   amdgcn-amd-amdhsa--gfx950
amdhsa.version:
  - 1
  - 2
...

	.end_amdgpu_metadata
